;; amdgpu-corpus repo=ROCm/rocFFT kind=compiled arch=gfx1201 opt=O3
	.text
	.amdgcn_target "amdgcn-amd-amdhsa--gfx1201"
	.amdhsa_code_object_version 6
	.protected	bluestein_single_back_len936_dim1_half_op_CI_CI ; -- Begin function bluestein_single_back_len936_dim1_half_op_CI_CI
	.globl	bluestein_single_back_len936_dim1_half_op_CI_CI
	.p2align	8
	.type	bluestein_single_back_len936_dim1_half_op_CI_CI,@function
bluestein_single_back_len936_dim1_half_op_CI_CI: ; @bluestein_single_back_len936_dim1_half_op_CI_CI
; %bb.0:
	s_load_b128 s[12:15], s[0:1], 0x28
	v_mul_u32_u24_e32 v1, 0x349, v0
	s_mov_b32 s2, exec_lo
	s_delay_alu instid0(VALU_DEP_1) | instskip(NEXT) | instid1(VALU_DEP_1)
	v_lshrrev_b32_e32 v1, 16, v1
	v_mad_co_u64_u32 v[12:13], null, ttmp9, 3, v[1:2]
	v_mov_b32_e32 v13, 0
                                        ; kill: def $vgpr2 killed $sgpr0 killed $exec
	s_wait_kmcnt 0x0
	s_delay_alu instid0(VALU_DEP_1)
	v_cmpx_gt_u64_e64 s[12:13], v[12:13]
	s_cbranch_execz .LBB0_10
; %bb.1:
	s_clause 0x1
	s_load_b128 s[4:7], s[0:1], 0x18
	s_load_b128 s[8:11], s[0:1], 0x0
	v_mul_lo_u16 v1, 0x4e, v1
	s_movk_i32 s2, 0xf9e8
	s_mov_b32 s3, -1
                                        ; implicit-def: $vgpr115
                                        ; implicit-def: $vgpr116
	s_delay_alu instid0(VALU_DEP_1) | instskip(NEXT) | instid1(VALU_DEP_1)
	v_sub_nc_u16 v0, v0, v1
	v_and_b32_e32 v57, 0xffff, v0
	s_delay_alu instid0(VALU_DEP_1)
	v_lshlrev_b32_e32 v1, 2, v57
	v_and_b32_e32 v23, 1, v57
	v_add_co_u32 v29, null, 0xea, v57
	s_wait_kmcnt 0x0
	s_load_b128 s[16:19], s[4:5], 0x0
	s_clause 0xb
	global_load_b32 v63, v1, s[8:9]
	global_load_b32 v60, v1, s[8:9] offset:312
	global_load_b32 v54, v1, s[8:9] offset:624
	;; [unrolled: 1-line block ×11, first 2 shown]
	v_lshlrev_b32_e32 v94, 1, v57
	s_wait_kmcnt 0x0
	v_mad_co_u64_u32 v[2:3], null, s18, v12, 0
	v_mad_co_u64_u32 v[4:5], null, s16, v57, 0
	s_mul_u64 s[4:5], s[16:17], 0x750
	s_mul_u64 s[2:3], s[16:17], s[2:3]
	s_delay_alu instid0(VALU_DEP_1) | instskip(NEXT) | instid1(VALU_DEP_1)
	v_mad_co_u64_u32 v[6:7], null, s19, v12, v[3:4]
	v_mad_co_u64_u32 v[7:8], null, s17, v57, v[5:6]
	v_mov_b32_e32 v3, v6
	s_delay_alu instid0(VALU_DEP_1) | instskip(NEXT) | instid1(VALU_DEP_3)
	v_lshlrev_b64_e32 v[2:3], 2, v[2:3]
	v_mov_b32_e32 v5, v7
	s_delay_alu instid0(VALU_DEP_2) | instskip(NEXT) | instid1(VALU_DEP_2)
	v_add_co_u32 v2, vcc_lo, s14, v2
	v_lshlrev_b64_e32 v[4:5], 2, v[4:5]
	s_delay_alu instid0(VALU_DEP_4) | instskip(NEXT) | instid1(VALU_DEP_2)
	v_add_co_ci_u32_e32 v3, vcc_lo, s15, v3, vcc_lo
	v_add_co_u32 v2, vcc_lo, v2, v4
	s_wait_alu 0xfffd
	s_delay_alu instid0(VALU_DEP_2) | instskip(NEXT) | instid1(VALU_DEP_2)
	v_add_co_ci_u32_e32 v3, vcc_lo, v3, v5, vcc_lo
	v_add_co_u32 v4, vcc_lo, v2, s4
	s_wait_alu 0xfffd
	s_delay_alu instid0(VALU_DEP_2)
	v_add_co_ci_u32_e32 v5, vcc_lo, s5, v3, vcc_lo
	s_clause 0x1
	global_load_b32 v6, v[2:3], off
	global_load_b32 v7, v[4:5], off
	v_add_co_u32 v2, vcc_lo, v4, s2
	s_wait_alu 0xfffd
	v_add_co_ci_u32_e32 v3, vcc_lo, s3, v5, vcc_lo
	s_delay_alu instid0(VALU_DEP_2) | instskip(SKIP_1) | instid1(VALU_DEP_2)
	v_add_co_u32 v4, vcc_lo, v2, s4
	s_wait_alu 0xfffd
	v_add_co_ci_u32_e32 v5, vcc_lo, s5, v3, vcc_lo
	s_clause 0x1
	global_load_b32 v8, v[2:3], off
	global_load_b32 v9, v[4:5], off
	v_add_co_u32 v2, vcc_lo, v4, s2
	s_wait_alu 0xfffd
	v_add_co_ci_u32_e32 v3, vcc_lo, s3, v5, vcc_lo
	s_delay_alu instid0(VALU_DEP_2) | instskip(SKIP_1) | instid1(VALU_DEP_2)
	v_add_co_u32 v4, vcc_lo, v2, s4
	s_wait_alu 0xfffd
	v_add_co_ci_u32_e32 v5, vcc_lo, s5, v3, vcc_lo
	global_load_b32 v10, v[2:3], off
	global_load_b32 v11, v[4:5], off
	v_add_co_u32 v2, vcc_lo, v4, s2
	s_wait_alu 0xfffd
	v_add_co_ci_u32_e32 v3, vcc_lo, s3, v5, vcc_lo
	s_delay_alu instid0(VALU_DEP_2) | instskip(SKIP_1) | instid1(VALU_DEP_2)
	v_add_co_u32 v4, vcc_lo, v2, s4
	s_wait_alu 0xfffd
	v_add_co_ci_u32_e32 v5, vcc_lo, s5, v3, vcc_lo
	global_load_b32 v13, v[2:3], off
	v_add_co_u32 v2, vcc_lo, v4, s2
	s_wait_alu 0xfffd
	v_add_co_ci_u32_e32 v3, vcc_lo, s3, v5, vcc_lo
	global_load_b32 v14, v[4:5], off
	;; [unrolled: 4-line block ×5, first 2 shown]
	global_load_b32 v5, v[4:5], off
	v_mul_hi_u32 v2, 0xaaaaaaab, v12
	v_add_co_u32 v28, s2, 0x4e, v57
	s_wait_alu 0xf1ff
	v_add_co_ci_u32_e64 v30, null, 0, 0, s2
	v_add_co_u32 v27, s2, 0x9c, v57
	s_load_b128 s[4:7], s[6:7], 0x0
	s_delay_alu instid0(VALU_DEP_4) | instskip(SKIP_2) | instid1(VALU_DEP_3)
	v_lshrrev_b32_e32 v2, 1, v2
	v_cmp_gt_u16_e32 vcc_lo, 0x48, v0
	v_lshlrev_b32_e32 v39, 1, v28
	v_lshl_add_u32 v2, v2, 1, v2
	s_delay_alu instid0(VALU_DEP_1) | instskip(NEXT) | instid1(VALU_DEP_1)
	v_sub_nc_u32_e32 v2, v12, v2
	v_mul_u32_u24_e32 v2, 0x3a8, v2
	s_delay_alu instid0(VALU_DEP_1) | instskip(SKIP_2) | instid1(VALU_DEP_3)
	v_lshlrev_b32_e32 v67, 2, v2
	v_add_co_ci_u32_e64 v2, null, 0, 0, s2
	v_add_co_u32 v40, s2, 0x138, v57
	v_add_nc_u32_e32 v58, v1, v67
	s_wait_alu 0xf1ff
	v_add_co_ci_u32_e64 v2, null, 0, 0, s2
	v_add_co_u32 v88, s2, 0x186, v57
	s_delay_alu instid0(VALU_DEP_3)
	v_add_nc_u32_e32 v3, 0x800, v58
	v_add_nc_u32_e32 v24, 0x600, v58
	;; [unrolled: 1-line block ×5, first 2 shown]
	v_lshl_add_u32 v37, v57, 3, v67
	v_lshl_add_u32 v36, v28, 3, v67
	;; [unrolled: 1-line block ×6, first 2 shown]
	s_wait_loadcnt 0x17
	v_lshrrev_b32_e32 v66, 16, v63
	s_wait_loadcnt 0x16
	v_lshrrev_b32_e32 v64, 16, v60
	;; [unrolled: 2-line block ×6, first 2 shown]
	v_lshrrev_b32_e32 v53, 16, v50
	s_wait_loadcnt 0xe
	v_lshrrev_b32_e32 v51, 16, v48
	v_lshrrev_b32_e32 v49, 16, v46
	s_wait_loadcnt 0xd
	v_lshrrev_b32_e32 v47, 16, v44
	;; [unrolled: 3-line block ×3, first 2 shown]
	s_wait_loadcnt 0xb
	v_lshrrev_b32_e32 v18, 16, v6
	v_mul_f16_e32 v19, v66, v6
	s_wait_loadcnt 0xa
	v_lshrrev_b32_e32 v21, 16, v7
	v_mul_f16_e32 v22, v65, v7
	v_mul_f16_e32 v20, v66, v18
	v_fma_f16 v18, v63, v18, -v19
	s_delay_alu instid0(VALU_DEP_2)
	v_fmac_f16_e32 v20, v63, v6
	v_mul_f16_e32 v6, v65, v21
	v_fma_f16 v21, v62, v21, -v22
	s_wait_loadcnt 0x9
	v_lshrrev_b32_e32 v19, 16, v8
	v_mul_f16_e32 v22, v64, v8
	v_fmac_f16_e32 v6, v62, v7
	v_pack_b32_f16 v18, v20, v18
	s_wait_loadcnt 0x8
	v_lshrrev_b32_e32 v20, 16, v9
	v_mul_f16_e32 v7, v64, v19
	v_fma_f16 v19, v60, v19, -v22
	v_pack_b32_f16 v6, v6, v21
	v_mul_f16_e32 v26, v61, v9
	s_delay_alu instid0(VALU_DEP_4)
	v_fmac_f16_e32 v7, v60, v8
	v_mul_f16_e32 v8, v61, v20
	s_wait_loadcnt 0x7
	v_lshrrev_b32_e32 v21, 16, v10
	v_mul_f16_e32 v22, v59, v10
	ds_store_b32 v58, v6 offset:1872
	v_pack_b32_f16 v6, v7, v19
	v_fma_f16 v20, v56, v20, -v26
	v_mul_f16_e32 v7, v59, v21
	v_fmac_f16_e32 v8, v56, v9
	s_wait_loadcnt 0x6
	v_lshrrev_b32_e32 v19, 16, v11
	v_fma_f16 v9, v54, v21, -v22
	v_mul_f16_e32 v21, v55, v11
	v_fmac_f16_e32 v7, v54, v10
	s_wait_loadcnt 0x5
	v_lshrrev_b32_e32 v10, 16, v13
	ds_store_2addr_b32 v58, v18, v6 offset1:78
	v_pack_b32_f16 v6, v8, v20
	v_mul_f16_e32 v8, v55, v19
	v_mul_f16_e32 v18, v53, v13
	v_pack_b32_f16 v7, v7, v9
	v_mul_f16_e32 v9, v53, v10
	v_fma_f16 v19, v52, v19, -v21
	v_fmac_f16_e32 v8, v52, v11
	s_wait_loadcnt 0x4
	v_lshrrev_b32_e32 v11, 16, v14
	v_fma_f16 v10, v50, v10, -v18
	v_mul_f16_e32 v18, v51, v14
	v_fmac_f16_e32 v9, v50, v13
	s_wait_loadcnt 0x3
	v_lshrrev_b32_e32 v13, 16, v15
	v_pack_b32_f16 v8, v8, v19
	v_mul_f16_e32 v19, v51, v11
	v_fma_f16 v11, v48, v11, -v18
	v_mul_f16_e32 v18, v49, v15
	v_pack_b32_f16 v9, v9, v10
	v_mul_f16_e32 v10, v49, v13
	v_fmac_f16_e32 v19, v48, v14
	s_wait_loadcnt 0x2
	v_lshrrev_b32_e32 v14, 16, v16
	v_fma_f16 v13, v46, v13, -v18
	v_mul_f16_e32 v18, v47, v16
	v_fmac_f16_e32 v10, v46, v15
	s_wait_loadcnt 0x1
	v_lshrrev_b32_e32 v15, 16, v17
	s_wait_loadcnt 0x0
	v_lshrrev_b32_e32 v21, 16, v5
	v_mul_f16_e32 v20, v47, v14
	v_fma_f16 v14, v44, v14, -v18
	v_mul_f16_e32 v18, v45, v17
	v_mul_f16_e32 v22, v45, v15
	;; [unrolled: 1-line block ×4, first 2 shown]
	v_fmac_f16_e32 v20, v44, v16
	v_fma_f16 v15, v42, v15, -v18
	v_fmac_f16_e32 v22, v42, v17
	v_fma_f16 v16, v41, v21, -v26
	v_fmac_f16_e32 v31, v41, v5
	v_pack_b32_f16 v5, v19, v11
	v_pack_b32_f16 v11, v20, v14
	;; [unrolled: 1-line block ×5, first 2 shown]
	ds_store_2addr_b32 v3, v6, v8 offset0:34 offset1:112
	ds_store_2addr_b32 v58, v7, v9 offset0:156 offset1:234
	;; [unrolled: 1-line block ×4, first 2 shown]
	ds_store_b32 v58, v14 offset:3432
	global_wb scope:SCOPE_SE
	s_wait_dscnt 0x0
	s_wait_kmcnt 0x0
	s_barrier_signal -1
	s_barrier_wait -1
	global_inv scope:SCOPE_SE
	ds_load_2addr_b32 v[5:6], v58 offset1:78
	ds_load_2addr_b32 v[7:8], v24 offset0:84 offset1:162
	ds_load_2addr_b32 v[9:10], v58 offset0:156 offset1:234
	;; [unrolled: 1-line block ×5, first 2 shown]
	s_wait_alu 0xf1ff
	v_add_co_ci_u32_e64 v11, null, 0, 0, s2
	v_lshlrev_b32_e32 v22, 2, v23
	global_wb scope:SCOPE_SE
	s_wait_dscnt 0x0
	s_barrier_signal -1
	s_barrier_wait -1
	global_inv scope:SCOPE_SE
	s_load_b64 s[2:3], s[0:1], 0x38
	v_pk_add_f16 v19, v5, v7 neg_lo:[0,1] neg_hi:[0,1]
	v_pk_add_f16 v7, v6, v8 neg_lo:[0,1] neg_hi:[0,1]
	;; [unrolled: 1-line block ×6, first 2 shown]
	v_pk_fma_f16 v18, v5, 2.0, v19 op_sel_hi:[1,0,1] neg_lo:[0,0,1] neg_hi:[0,0,1]
	v_pk_fma_f16 v6, v6, 2.0, v7 op_sel_hi:[1,0,1] neg_lo:[0,0,1] neg_hi:[0,0,1]
	;; [unrolled: 1-line block ×6, first 2 shown]
	ds_store_b64 v37, v[18:19]
	ds_store_b64 v36, v[6:7]
	;; [unrolled: 1-line block ×6, first 2 shown]
	global_wb scope:SCOPE_SE
	s_wait_dscnt 0x0
	s_wait_kmcnt 0x0
	s_barrier_signal -1
	s_barrier_wait -1
	global_inv scope:SCOPE_SE
	global_load_b32 v31, v22, s[10:11]
	v_lshlrev_b32_e32 v7, 1, v27
	v_lshlrev_b32_e32 v8, 1, v29
	;; [unrolled: 1-line block ×3, first 2 shown]
	v_and_or_b32 v14, 0xfc, v94, v23
	v_add_co_u32 v21, s0, s8, v1
	ds_load_2addr_b32 v[0:1], v58 offset1:78
	ds_load_2addr_b32 v[5:6], v24 offset0:84 offset1:162
	v_and_or_b32 v16, 0x3fc, v7, v23
	v_and_or_b32 v17, 0x3fc, v8, v23
	ds_load_2addr_b32 v[7:8], v58 offset0:156 offset1:234
	ds_load_2addr_b32 v[9:10], v3 offset0:112 offset1:190
	v_and_or_b32 v18, 0x7fc, v13, v23
	v_lshl_add_u32 v72, v14, 2, v67
	ds_load_2addr_b32 v[70:71], v4 offset0:56 offset1:134
	ds_load_2addr_b32 v[13:14], v25 offset0:12 offset1:90
	v_and_or_b32 v15, 0x1fc, v39, v23
	v_lshlrev_b32_e32 v11, 1, v40
	v_lshl_add_u32 v74, v16, 2, v67
	v_lshl_add_u32 v77, v18, 2, v67
	;; [unrolled: 1-line block ×4, first 2 shown]
	v_and_or_b32 v11, 0x3fc, v11, v23
	s_wait_alu 0xf1ff
	v_add_co_ci_u32_e64 v22, null, s9, 0, s0
	global_wb scope:SCOPE_SE
	s_wait_loadcnt_dscnt 0x0
	s_barrier_signal -1
	v_lshl_add_u32 v76, v11, 2, v67
	v_lshrrev_b32_e32 v11, 16, v0
	v_lshrrev_b32_e32 v15, 16, v5
	;; [unrolled: 1-line block ×12, first 2 shown]
	s_barrier_wait -1
	global_inv scope:SCOPE_SE
	v_lshrrev_b32_e32 v38, 16, v31
	s_delay_alu instid0(VALU_DEP_1)
	v_mul_f16_e32 v69, v15, v38
	v_mul_f16_e32 v78, v5, v38
	;; [unrolled: 1-line block ×12, first 2 shown]
	v_fma_f16 v5, v5, v31, -v69
	v_fmac_f16_e32 v78, v15, v31
	v_fma_f16 v6, v6, v31, -v79
	v_fmac_f16_e32 v80, v16, v31
	;; [unrolled: 2-line block ×6, first 2 shown]
	v_sub_f16_e32 v14, v0, v5
	v_sub_f16_e32 v107, v11, v78
	;; [unrolled: 1-line block ×12, first 2 shown]
	v_fma_f16 v13, v0, 2.0, -v14
	v_fma_f16 v89, v11, 2.0, -v107
	;; [unrolled: 1-line block ×12, first 2 shown]
	v_pack_b32_f16 v0, v14, v107
	v_pack_b32_f16 v9, v13, v89
	;; [unrolled: 1-line block ×12, first 2 shown]
	ds_store_2addr_b32 v72, v9, v0 offset1:2
	ds_store_2addr_b32 v73, v10, v1 offset1:2
	;; [unrolled: 1-line block ×6, first 2 shown]
	global_wb scope:SCOPE_SE
	s_wait_dscnt 0x0
	s_barrier_signal -1
	s_barrier_wait -1
	global_inv scope:SCOPE_SE
	s_and_saveexec_b32 s0, vcc_lo
	s_cbranch_execz .LBB0_3
; %bb.2:
	ds_load_2addr_b32 v[13:14], v58 offset1:72
	ds_load_2addr_b32 v[15:16], v58 offset0:144 offset1:216
	ds_load_2addr_b32 v[17:18], v4 offset0:32 offset1:104
	;; [unrolled: 1-line block ×5, first 2 shown]
	ds_load_b32 v115, v58 offset:3456
	s_wait_dscnt 0x6
	v_lshrrev_b32_e32 v89, 16, v13
	v_lshrrev_b32_e32 v107, 16, v14
	s_wait_dscnt 0x5
	v_lshrrev_b32_e32 v108, 16, v15
	v_lshrrev_b32_e32 v106, 16, v16
	s_wait_dscnt 0x4
	v_lshrrev_b32_e32 v114, 16, v17
	v_lshrrev_b32_e32 v105, 16, v18
	s_wait_dscnt 0x3
	v_lshrrev_b32_e32 v113, 16, v19
	v_lshrrev_b32_e32 v102, 16, v20
	s_wait_dscnt 0x2
	v_lshrrev_b32_e32 v112, 16, v23
	v_lshrrev_b32_e32 v96, 16, v24
	s_wait_dscnt 0x1
	v_lshrrev_b32_e32 v111, 16, v25
	v_lshrrev_b32_e32 v69, 16, v26
	s_wait_dscnt 0x0
	v_lshrrev_b32_e32 v116, 16, v115
.LBB0_3:
	s_wait_alu 0xfffe
	s_or_b32 exec_lo, exec_lo, s0
	v_and_b32_e32 v68, 3, v57
	s_delay_alu instid0(VALU_DEP_1) | instskip(NEXT) | instid1(VALU_DEP_1)
	v_mul_u32_u24_e32 v0, 12, v68
	v_lshlrev_b32_e32 v8, 2, v0
	s_clause 0x2
	global_load_b128 v[4:7], v8, s[10:11] offset:8
	global_load_b128 v[0:3], v8, s[10:11] offset:24
	;; [unrolled: 1-line block ×3, first 2 shown]
	global_wb scope:SCOPE_SE
	s_wait_loadcnt 0x0
	s_barrier_signal -1
	s_barrier_wait -1
	global_inv scope:SCOPE_SE
	v_lshrrev_b32_e32 v86, 16, v4
	v_lshrrev_b32_e32 v84, 16, v5
	;; [unrolled: 1-line block ×5, first 2 shown]
	v_mul_f16_e32 v109, v107, v86
	v_mul_f16_e32 v104, v14, v86
	;; [unrolled: 1-line block ×4, first 2 shown]
	v_lshrrev_b32_e32 v80, 16, v7
	v_lshrrev_b32_e32 v78, 16, v0
	;; [unrolled: 1-line block ×4, first 2 shown]
	v_mul_f16_e32 v117, v108, v84
	v_mul_f16_e32 v103, v15, v84
	;; [unrolled: 1-line block ×5, first 2 shown]
	v_fma_f16 v110, v14, v4, -v109
	v_fmac_f16_e32 v104, v107, v4
	v_fma_f16 v14, v115, v11, -v127
	v_fmac_f16_e32 v91, v116, v11
	v_lshrrev_b32_e32 v70, 16, v1
	v_lshrrev_b32_e32 v81, 16, v8
	v_mul_f16_e32 v101, v16, v82
	v_mul_f16_e32 v100, v17, v80
	;; [unrolled: 1-line block ×6, first 2 shown]
	v_fma_f16 v109, v15, v5, -v117
	v_fmac_f16_e32 v103, v108, v5
	v_fma_f16 v108, v16, v6, -v118
	v_fma_f16 v16, v26, v10, -v126
	v_fmac_f16_e32 v90, v69, v10
	v_sub_f16_e32 v127, v110, v14
	v_sub_f16_e64 v148, v104, v91
	v_lshrrev_b32_e32 v71, 16, v2
	v_mul_f16_e32 v119, v114, v80
	v_mul_f16_e32 v99, v18, v78
	;; [unrolled: 1-line block ×5, first 2 shown]
	v_fmac_f16_e32 v101, v106, v6
	v_fmac_f16_e32 v100, v114, v7
	v_fma_f16 v106, v18, v0, -v120
	v_fma_f16 v18, v23, v3, -v123
	;; [unrolled: 1-line block ×3, first 2 shown]
	v_fmac_f16_e32 v93, v111, v9
	v_add_f16_e32 v114, v110, v14
	v_add_f16_e64 v154, v104, v91
	v_sub_f16_e64 v129, v109, v16
	v_sub_f16_e64 v150, v103, v90
	v_mul_f16_e64 v120, 0xb770, v148
	v_mul_f16_e32 v123, 0xb770, v127
	v_mul_f16_e32 v122, v102, v71
	;; [unrolled: 1-line block ×4, first 2 shown]
	v_fma_f16 v107, v17, v7, -v119
	v_fmac_f16_e32 v99, v105, v0
	v_fma_f16 v105, v19, v1, -v121
	v_fma_f16 v17, v24, v8, -v124
	v_fmac_f16_e32 v92, v96, v8
	v_add_f16_e32 v117, v109, v16
	v_add_f16_e64 v156, v103, v90
	v_sub_f16_e32 v124, v108, v15
	v_sub_f16_e64 v152, v101, v93
	v_mul_f16_e64 v118, 0xba95, v150
	v_mul_f16_e64 v121, 0xba95, v129
	v_fmamk_f16 v25, v114, 0x3b15, v120
	v_fma_f16 v69, v154, 0x3b15, -v123
	v_mul_f16_e32 v98, v19, v70
	v_fma_f16 v19, v20, v2, -v122
	v_fmac_f16_e32 v97, v102, v2
	v_fmac_f16_e32 v95, v112, v3
	v_add_f16_e32 v122, v108, v15
	v_add_f16_e64 v157, v101, v93
	v_sub_f16_e32 v126, v107, v17
	v_sub_f16_e64 v147, v100, v92
	v_mul_f16_e64 v112, 0xbbf1, v152
	v_mul_f16_e32 v116, 0xbbf1, v124
	v_fmamk_f16 v96, v117, 0x388b, v118
	v_fma_f16 v102, v156, 0x388b, -v121
	v_add_f16_e32 v25, v13, v25
	v_add_f16_e32 v69, v89, v69
	v_fmac_f16_e32 v98, v113, v1
	v_add_f16_e32 v24, v107, v17
	v_add_f16_e64 v153, v100, v92
	v_sub_f16_e64 v128, v106, v18
	v_sub_f16_e64 v149, v99, v95
	v_mul_f16_e64 v111, 0xbb7b, v147
	v_mul_f16_e32 v113, 0xbb7b, v126
	v_fmamk_f16 v119, v122, 0x2fb7, v112
	v_fma_f16 v130, v157, 0x2fb7, -v116
	v_add_f16_e32 v96, v96, v25
	v_add_f16_e32 v69, v102, v69
	;; [unrolled: 1-line block ×3, first 2 shown]
	v_add_f16_e64 v155, v99, v95
	v_sub_f16_e64 v151, v98, v97
	v_sub_f16_e32 v125, v105, v19
	v_mul_f16_e64 v26, 0xb94e, v149
	v_mul_f16_e64 v115, 0xb94e, v128
	v_fmamk_f16 v102, v24, 0xb5ac, v111
	v_fma_f16 v131, v153, 0xb5ac, -v113
	v_add_f16_e32 v96, v119, v96
	v_add_f16_e64 v69, v130, v69
	v_add_f16_e32 v23, v105, v19
	v_add_f16_e64 v158, v98, v97
	v_mul_f16_e64 v25, 0xb3a8, v151
	v_mul_f16_e32 v119, 0xb3a8, v125
	v_fma_f16 v130, 0xb9fd, v20, v26
	v_fma_f16 v132, v155, 0xb9fd, -v115
	v_add_f16_e32 v96, v102, v96
	v_add_f16_e64 v69, v131, v69
	v_fmamk_f16 v102, v23, 0xbbc4, v25
	v_fma_f16 v131, v158, 0xbbc4, -v119
	s_delay_alu instid0(VALU_DEP_4) | instskip(NEXT) | instid1(VALU_DEP_4)
	v_add_f16_e64 v96, v130, v96
	v_add_f16_e64 v69, v132, v69
	s_delay_alu instid0(VALU_DEP_2) | instskip(NEXT) | instid1(VALU_DEP_2)
	v_add_f16_e32 v96, v102, v96
	v_add_f16_e64 v102, v131, v69
	v_lshrrev_b32_e32 v69, 2, v57
	s_and_saveexec_b32 s0, vcc_lo
	s_cbranch_execz .LBB0_5
; %bb.4:
	v_mul_f16_e64 v159, 0x388b, v154
	v_mul_f16_e64 v160, 0xb5ac, v156
	;; [unrolled: 1-line block ×5, first 2 shown]
	v_fma_f16 v130, 0x3a95, v127, v159
	v_fma_f16 v142, 0x3b7b, v129, v160
	;; [unrolled: 1-line block ×4, first 2 shown]
	v_mul_f16_e64 v164, 0xbb7b, v150
	v_add_f16_e64 v140, v89, v130
	v_mul_f16_e64 v145, 0x2fb7, v155
	v_mul_f16_e64 v166, 0xb3a8, v152
	v_add_f16_e64 v146, v13, v144
	v_fma_f16 v165, 0xb5ac, v117, v164
	v_add_f16_e64 v140, v142, v140
	v_mul_f16_e64 v144, 0x3b15, v158
	v_mul_f16_e64 v167, 0x394e, v147
	;; [unrolled: 1-line block ×3, first 2 shown]
	v_add_f16_e64 v146, v165, v146
	v_add_f16_e64 v140, v143, v140
	v_fma_f16 v143, 0xb94e, v126, v163
	v_fma_f16 v165, 0xbbc4, v122, v166
	v_mul_f16_e64 v169, 0x3bf1, v149
	v_mul_f16_e64 v170, 0xbbc4, v156
	;; [unrolled: 1-line block ×3, first 2 shown]
	v_add_f16_e64 v140, v143, v140
	v_fma_f16 v143, 0xbbf1, v128, v145
	v_add_f16_e64 v146, v165, v146
	v_fma_f16 v165, 0xb9fd, v24, v167
	v_fma_f16 v172, 0x33a8, v129, v170
	v_mul_f16_e64 v173, 0xb5ac, v157
	v_add_f16_e64 v140, v143, v140
	v_fma_f16 v143, 0xb770, v125, v144
	v_add_f16_e64 v146, v165, v146
	v_fma_f16 v165, 0x2fb7, v20, v169
	v_mul_f16_e64 v174, 0xbbf1, v148
	v_fma_f16 v175, 0xbb7b, v124, v173
	v_add_f16_e64 v140, v143, v140
	v_fma_f16 v143, 0x3bf1, v127, v168
	v_add_f16_e64 v146, v165, v146
	v_fma_f16 v165, 0x3b15, v23, v171
	v_mul_f16_e64 v176, 0x3b15, v153
	v_mul_f16_e64 v177, 0x388b, v155
	v_add_f16_e64 v143, v89, v143
	v_mul_f16_e64 v179, 0x3b7b, v152
	v_mul_f16_e64 v180, 0xb9fd, v158
	;; [unrolled: 1-line block ×4, first 2 shown]
	v_add_f16_e64 v172, v172, v143
	v_add_f16_e64 v143, v165, v146
	v_fma_f16 v146, 0x2fb7, v114, v174
	v_mul_f16_e64 v165, 0xb3a8, v150
	v_fma_f16 v183, 0x3b15, v24, v181
	v_add_f16_e64 v172, v175, v172
	v_fma_f16 v175, 0xb770, v126, v176
	v_add_f16_e64 v146, v13, v146
	v_fma_f16 v178, 0xbbc4, v117, v165
	v_mul_f16_e64 v184, 0xba95, v149
	v_mul_f16_e64 v185, 0xb94e, v151
	v_add_f16_e64 v172, v175, v172
	v_fma_f16 v175, 0x3a95, v128, v177
	v_add_f16_e64 v146, v178, v146
	v_fma_f16 v178, 0xb5ac, v122, v179
	v_mul_f16_e64 v187, 0x3b15, v157
	v_mul_f16_e64 v188, 0xbb7b, v148
	v_add_f16_e64 v172, v175, v172
	v_fma_f16 v175, 0x394e, v125, v180
	v_add_f16_e64 v178, v178, v146
	v_mul_f16_e64 v189, 0x2fb7, v153
	v_mul_f16_e64 v190, 0x394e, v150
	;; [unrolled: 1-line block ×3, first 2 shown]
	v_add_f16_e64 v146, v175, v172
	v_fma_f16 v172, 0x3b7b, v127, v182
	v_mul_f16_e64 v175, 0xb9fd, v156
	v_add_f16_e64 v178, v183, v178
	v_fma_f16 v183, 0x388b, v20, v184
	v_fma_f16 v192, 0xb9fd, v117, v190
	v_add_f16_e64 v172, v89, v172
	v_fma_f16 v186, 0xb94e, v129, v175
	v_mul_f16_e64 v193, 0x3770, v152
	v_add_f16_e64 v178, v183, v178
	v_fma_f16 v183, 0xb9fd, v23, v185
	v_mul_f16_e64 v194, 0x388b, v158
	;; [unrolled: 3-line block ×5, first 2 shown]
	v_add_f16_e64 v183, v13, v183
	v_mul_f16_e64 v198, 0x2fb7, v156
	v_mul_f16_e64 v199, 0x3a95, v151
	v_add_f16_e64 v172, v186, v172
	v_fma_f16 v186, 0xb3a8, v128, v191
	v_add_f16_e64 v183, v192, v183
	v_fma_f16 v192, 0x3b15, v122, v193
	v_fma_f16 v200, 0xbbf1, v129, v198
	v_mul_f16_e64 v201, 0x388b, v157
	v_add_f16_e64 v172, v186, v172
	v_fma_f16 v186, 0xba95, v125, v194
	v_add_f16_e64 v183, v192, v183
	v_fma_f16 v192, 0x2fb7, v24, v195
	v_mul_f16_e64 v202, 0xb94e, v148
	v_mul_f16_e64 v203, 0xbbc4, v153
	v_add_f16_e64 v172, v186, v172
	v_fma_f16 v186, 0x394e, v127, v196
	v_add_f16_e64 v183, v192, v183
	v_fma_f16 v192, 0xbbc4, v20, v197
	v_mul_f16_e64 v204, 0x3bf1, v150
	v_mul_f16_e64 v205, 0x3b15, v155
	v_add_f16_e64 v186, v89, v186
	v_mul_f16_e64 v207, 0xba95, v152
	v_add_f16_e64 v183, v192, v183
	v_fma_f16 v192, 0x388b, v23, v199
	v_fma_f16 v206, 0x2fb7, v117, v204
	v_add_f16_e64 v186, v200, v186
	v_fma_f16 v200, 0x3a95, v124, v201
	v_mul_f16_e64 v208, 0xb5ac, v158
	v_add_f16_e64 v183, v192, v183
	v_fma_f16 v192, 0xb9fd, v114, v202
	v_mul_f16_e64 v209, 0x33a8, v147
	;; [unrolled: 3-line block ×3, first 2 shown]
	v_add_f16_e64 v192, v13, v192
	v_mul_f16_e64 v154, 0xbbc4, v154
	v_mul_f16_e64 v210, 0x3770, v149
	v_add_f16_e64 v186, v200, v186
	v_fma_f16 v200, 0xb770, v128, v205
	v_add_f16_e64 v192, v206, v192
	v_fma_f16 v206, 0x388b, v122, v207
	v_mul_f16_e64 v141, 0x388b, v156
	v_mul_f16_e64 v156, 0x3b15, v156
	v_add_f16_e64 v186, v200, v186
	v_fma_f16 v200, 0x3b7b, v125, v208
	v_add_f16_e64 v192, v206, v192
	v_fma_f16 v206, 0xbbc4, v24, v209
	v_mul_f16_e64 v211, 0xbb7b, v151
	v_mul_f16_e64 v138, 0x2fb7, v157
	v_add_f16_e64 v186, v200, v186
	v_fma_f16 v200, 0x33a8, v127, v154
	v_add_f16_e64 v192, v206, v192
	v_fma_f16 v206, 0x3b15, v20, v210
	v_fma_f16 v212, 0xb770, v129, v156
	v_mul_f16_e64 v157, 0xb9fd, v157
	v_add_f16_e64 v200, v89, v200
	v_mul_f16_e64 v148, 0xb3a8, v148
	v_add_f16_e64 v192, v206, v192
	v_fma_f16 v206, 0xb5ac, v23, v211
	v_fmac_f16_e64 v154, 0xb3a8, v127
	v_mul_f16_e64 v137, 0xb5ac, v153
	v_add_f16_e64 v200, v212, v200
	v_fma_f16 v212, 0x394e, v124, v157
	v_mul_f16_e64 v153, 0x388b, v153
	v_add_f16_e64 v192, v206, v192
	v_fma_f16 v206, 0xbbc4, v114, v148
	v_mul_f16_e64 v150, 0x3770, v150
	v_add_f16_e64 v154, v89, v154
	v_fmac_f16_e64 v156, 0x3770, v129
	v_mul_f16_e64 v135, 0xb9fd, v155
	v_add_f16_e64 v200, v212, v200
	v_fma_f16 v212, 0xba95, v126, v153
	v_mul_f16_e64 v155, 0xb5ac, v155
	v_add_f16_e64 v206, v13, v206
	v_fma_f16 v213, 0x3b15, v117, v150
	v_mul_f16_e64 v152, 0xb94e, v152
	v_add_f16_e64 v154, v156, v154
	v_fmac_f16_e64 v157, 0xb94e, v124
	v_add_f16_e64 v200, v212, v200
	v_fma_f16 v212, 0x3b7b, v128, v155
	v_add_f16_e64 v206, v213, v206
	v_fma_f16 v213, 0xb9fd, v122, v152
	v_mul_f16_e64 v147, 0x3a95, v147
	v_add_f16_e64 v154, v157, v154
	v_fmac_f16_e64 v153, 0x3a95, v126
	v_mul_f16_e64 v142, 0xbbc4, v158
	v_add_f16_e64 v200, v212, v200
	v_add_f16_e64 v206, v213, v206
	v_fma_f16 v212, 0x388b, v24, v147
	v_mul_f16_e64 v158, 0x2fb7, v158
	v_fma_f16 v148, v114, 0xbbc4, -v148
	v_add_f16_e64 v153, v153, v154
	v_fmac_f16_e64 v155, 0xbb7b, v128
	v_add_f16_e64 v156, v212, v206
	v_fma_f16 v212, 0xbbf1, v125, v158
	v_add_f16_e64 v148, v13, v148
	v_fma_f16 v150, v117, 0x3b15, -v150
	v_add_f16_e64 v153, v155, v153
	v_fmac_f16_e64 v158, 0x3bf1, v125
	v_mul_f16_e64 v149, 0xbb7b, v149
	v_fma_f16 v147, v24, 0x388b, -v147
	v_add_f16_e64 v148, v150, v148
	v_fma_f16 v150, v122, 0xb9fd, -v152
	v_add_f16_e64 v152, v158, v153
	v_fma_f16 v153, v114, 0xb9fd, -v202
	v_fma_f16 v206, 0xb5ac, v20, v149
	v_mul_f16_e64 v151, 0x3bf1, v151
	v_add_f16_e64 v148, v150, v148
	v_fmac_f16_e64 v168, 0xbbf1, v127
	v_add_f16_e64 v150, v13, v153
	v_fma_f16 v153, v117, 0x2fb7, -v204
	v_add_f16_e64 v156, v206, v156
	v_add_f16_e64 v147, v147, v148
	v_fma_f16 v148, v20, 0xb5ac, -v149
	v_fma_f16 v157, 0x2fb7, v23, v151
	v_add_f16_e64 v149, v153, v150
	v_fma_f16 v150, v122, 0x388b, -v207
	v_fmac_f16_e64 v170, 0xb3a8, v129
	v_add_f16_e64 v147, v148, v147
	v_add_f16_e64 v154, v157, v156
	v_fma_f16 v156, v117, 0xb9fd, -v190
	v_add_f16_e64 v148, v150, v149
	v_fma_f16 v149, v24, 0xbbc4, -v209
	v_add_f16_e64 v157, v89, v168
	v_fmac_f16_e64 v173, 0x3b7b, v124
	v_mul_f16_e64 v132, 0x3b15, v114
	v_fmac_f16_e64 v176, 0x3770, v126
	v_add_f16_e64 v148, v149, v148
	v_fma_f16 v149, v20, 0x3b15, -v210
	v_add_f16_e64 v157, v170, v157
	v_fma_f16 v158, v114, 0x2fb7, -v174
	v_mul_f16_e64 v139, 0x388b, v117
	v_fmac_f16_e64 v196, 0xb94e, v127
	v_add_f16_e64 v148, v149, v148
	v_fma_f16 v149, v114, 0xb5ac, -v188
	v_add_f16_e64 v157, v173, v157
	v_fma_f16 v114, v114, 0x388b, -v162
	v_fmac_f16_e64 v177, 0xba95, v128
	v_add_f16_e64 v158, v13, v158
	v_add_f16_e64 v149, v13, v149
	;; [unrolled: 1-line block ×3, first 2 shown]
	v_fma_f16 v165, v117, 0xbbc4, -v165
	v_add_f16_e32 v114, v13, v114
	v_fma_f16 v117, v117, 0xb5ac, -v164
	v_add_f16_e64 v149, v156, v149
	v_fma_f16 v156, v122, 0x3b15, -v193
	v_add_f16_e64 v155, v89, v196
	v_fmac_f16_e64 v198, 0x3bf1, v129
	v_add_f16_e32 v114, v117, v114
	v_fma_f16 v117, v122, 0xbbc4, -v166
	v_add_f16_e64 v149, v156, v149
	v_fma_f16 v156, v24, 0x2fb7, -v195
	v_add_f16_e32 v110, v13, v110
	v_add_f16_e32 v104, v89, v104
	v_mul_f16_e64 v133, 0xb5ac, v24
	v_add_f16_e64 v155, v198, v155
	v_add_f16_e64 v149, v156, v149
	v_fma_f16 v156, v20, 0xbbc4, -v197
	v_fmac_f16_e64 v201, 0xba95, v124
	v_fmac_f16_e64 v175, 0x394e, v129
	;; [unrolled: 1-line block ×3, first 2 shown]
	v_add_f16_e32 v114, v117, v114
	v_add_f16_e64 v149, v156, v149
	v_add_f16_e64 v156, v177, v157
	;; [unrolled: 1-line block ×3, first 2 shown]
	v_fma_f16 v158, v122, 0xb5ac, -v179
	v_add_f16_e32 v109, v110, v109
	v_add_f16_e32 v103, v104, v103
	v_mul_f16_e64 v131, 0xb9fd, v20
	v_add_f16_e64 v155, v201, v155
	v_add_f16_e64 v129, v158, v157
	v_fma_f16 v157, v24, 0x3b15, -v181
	v_fma_f16 v24, v24, 0xb9fd, -v167
	v_fmac_f16_e64 v203, 0x33a8, v126
	v_fmac_f16_e64 v187, 0x3770, v124
	;; [unrolled: 1-line block ×3, first 2 shown]
	v_add_f16_e64 v124, v157, v129
	v_fma_f16 v129, v20, 0x388b, -v184
	v_add_f16_e32 v24, v24, v114
	v_fma_f16 v20, v20, 0x2fb7, -v169
	v_add_f16_e32 v108, v109, v108
	v_add_f16_e32 v101, v103, v101
	v_add_f16_e64 v153, v203, v155
	v_fmac_f16_e64 v205, 0x3770, v128
	v_fmac_f16_e64 v182, 0xbb7b, v127
	;; [unrolled: 1-line block ×3, first 2 shown]
	v_add_f16_e32 v20, v20, v24
	v_add_f16_e64 v24, v123, v136
	v_add_f16_e32 v103, v108, v107
	v_add_f16_e32 v100, v101, v100
	v_add_f16_e64 v150, v205, v153
	v_add_f16_e64 v153, v89, v182
	;; [unrolled: 1-line block ×3, first 2 shown]
	v_add_f16_e32 v24, v89, v24
	v_add_f16_e32 v89, v103, v106
	;; [unrolled: 1-line block ×3, first 2 shown]
	v_sub_f16_e64 v101, v132, v120
	v_add_f16_e64 v103, v121, v141
	v_mul_f16_e64 v134, 0x2fb7, v122
	v_add_f16_e32 v89, v89, v105
	v_add_f16_e32 v98, v99, v98
	;; [unrolled: 1-line block ×3, first 2 shown]
	v_sub_f16_e64 v100, v139, v118
	v_add_f16_e32 v24, v103, v24
	v_add_f16_e64 v99, v116, v138
	v_add_f16_e32 v19, v89, v19
	v_add_f16_e32 v97, v98, v97
	v_add_f16_e64 v158, v160, v159
	v_add_f16_e32 v13, v100, v13
	v_sub_f16_e64 v89, v134, v112
	v_add_f16_e32 v24, v99, v24
	v_add_f16_e64 v98, v113, v137
	v_add_f16_e32 v18, v19, v18
	v_add_f16_e32 v19, v97, v95
	v_add_f16_e64 v153, v175, v153
	v_add_f16_e64 v157, v161, v158
	v_fmac_f16_e64 v163, 0x394e, v126
	v_add_f16_e32 v13, v89, v13
	v_sub_f16_e64 v89, v133, v111
	v_add_f16_e32 v24, v98, v24
	v_add_f16_e32 v17, v18, v17
	v_add_f16_e64 v18, v115, v135
	v_add_f16_e32 v19, v19, v92
	v_mul_f16_e64 v130, 0xbbc4, v23
	v_add_f16_e64 v153, v187, v153
	v_fmac_f16_e64 v189, 0xbbf1, v126
	v_add_f16_e64 v126, v163, v157
	v_fmac_f16_e64 v145, 0x3bf1, v128
	v_add_f16_e32 v13, v89, v13
	v_sub_f16_e64 v26, v131, v26
	v_add_f16_e32 v15, v17, v15
	v_add_f16_e32 v17, v18, v24
	;; [unrolled: 1-line block ×3, first 2 shown]
	v_fma_f16 v151, v23, 0x2fb7, -v151
	v_fma_f16 v155, v23, 0xb5ac, -v211
	v_add_f16_e64 v153, v189, v153
	v_fmac_f16_e64 v191, 0x33a8, v128
	v_fma_f16 v127, v23, 0x388b, -v199
	v_fmac_f16_e64 v180, 0xb94e, v125
	v_add_f16_e64 v124, v129, v124
	v_add_f16_e64 v117, v145, v126
	v_fmac_f16_e64 v144, 0x3770, v125
	v_fma_f16 v104, v23, 0xb9fd, -v185
	v_fma_f16 v23, v23, 0x3b15, -v171
	v_add_f16_e64 v19, v119, v142
	v_add_f16_e32 v13, v26, v13
	v_add_f16_e32 v15, v15, v16
	v_mul_u32_u24_e32 v16, 52, v69
	v_add_f16_e32 v18, v18, v90
	v_sub_f16_e64 v24, v130, v25
	v_fmac_f16_e64 v208, 0xbb7b, v125
	v_add_f16_e64 v153, v191, v153
	v_fmac_f16_e64 v194, 0x3a95, v125
	v_add_f16_e64 v122, v180, v156
	v_add_f16_e64 v109, v144, v117
	v_add_f16_e32 v17, v19, v17
	v_add_f16_e32 v14, v15, v14
	v_or_b32_e32 v15, v16, v68
	v_add_f16_e32 v16, v18, v91
	v_add_f16_e32 v13, v24, v13
	;; [unrolled: 1-line block ×4, first 2 shown]
	v_add_f16_e64 v150, v208, v150
	v_add_f16_e64 v153, v194, v153
	v_lshl_add_u32 v15, v15, 2, v67
	v_pack_b32_f16 v14, v14, v16
	v_pack_b32_f16 v13, v13, v17
	;; [unrolled: 1-line block ×4, first 2 shown]
	v_add_f16_e64 v18, v127, v149
	v_add_f16_e64 v19, v155, v148
	;; [unrolled: 1-line block ×4, first 2 shown]
	ds_store_2addr_b32 v15, v14, v13 offset1:4
	ds_store_2addr_b32 v15, v16, v17 offset0:8 offset1:12
	v_pack_b32_f16 v13, v18, v153
	v_pack_b32_f16 v14, v19, v150
	;; [unrolled: 1-line block ×8, first 2 shown]
	v_perm_b32 v24, v102, v96, 0x5040100
	ds_store_2addr_b32 v15, v13, v14 offset0:16 offset1:20
	ds_store_2addr_b32 v15, v16, v17 offset0:24 offset1:28
	;; [unrolled: 1-line block ×4, first 2 shown]
	ds_store_b32 v15, v24 offset:192
.LBB0_5:
	s_wait_alu 0xfffe
	s_or_b32 exec_lo, exec_lo, s0
	v_add_co_u32 v13, s0, 0xffffffcc, v57
	s_wait_alu 0xf1ff
	v_add_co_ci_u32_e64 v14, null, 0, -1, s0
	v_cmp_gt_u16_e64 s0, 52, v57
	v_and_b32_e32 v16, 0xff, v28
	v_and_b32_e32 v17, 0xff, v27
	;; [unrolled: 1-line block ×4, first 2 shown]
	s_wait_alu 0xf1ff
	v_cndmask_b32_e64 v14, v14, 0, s0
	v_cndmask_b32_e64 v13, v13, v57, s0
	v_mul_lo_u16 v16, 0x4f, v16
	v_and_b32_e32 v20, 0xffff, v88
	v_mul_lo_u16 v95, 0x4f, v17
	v_mul_u32_u24_e32 v99, 0x4ec5, v18
	v_lshlrev_b64_e32 v[14:15], 2, v[13:14]
	v_mul_u32_u24_e32 v17, 0x4ec5, v19
	v_lshrrev_b16 v100, 12, v16
	v_mul_u32_u24_e32 v16, 0x4ec5, v20
	v_lshrrev_b16 v20, 12, v95
	v_lshrrev_b32_e32 v101, 20, v99
	v_lshrrev_b32_e32 v105, 20, v17
	v_add_co_u32 v14, s0, s10, v14
	v_lshrrev_b32_e32 v106, 20, v16
	v_mul_lo_u16 v17, v100, 52
	s_wait_alu 0xf1ff
	v_add_co_ci_u32_e64 v15, s0, s11, v15, s0
	v_mul_lo_u16 v16, v20, 52
	v_mul_lo_u16 v18, v101, 52
	;; [unrolled: 1-line block ×4, first 2 shown]
	v_sub_nc_u16 v17, v28, v17
	global_wb scope:SCOPE_SE
	s_wait_dscnt 0x0
	s_barrier_signal -1
	s_barrier_wait -1
	global_inv scope:SCOPE_SE
	v_sub_nc_u16 v16, v27, v16
	global_load_b32 v90, v[14:15], off offset:200
	v_sub_nc_u16 v107, v29, v18
	v_sub_nc_u16 v108, v40, v19
	;; [unrolled: 1-line block ×3, first 2 shown]
	v_and_b32_e32 v110, 0xff, v17
	v_and_b32_e32 v111, 0xff, v16
	;; [unrolled: 1-line block ×5, first 2 shown]
	v_lshlrev_b32_e32 v17, 2, v110
	v_lshlrev_b32_e32 v18, 2, v111
	;; [unrolled: 1-line block ×5, first 2 shown]
	s_clause 0x4
	global_load_b32 v93, v17, s[10:11] offset:200
	global_load_b32 v92, v18, s[10:11] offset:200
	;; [unrolled: 1-line block ×5, first 2 shown]
	v_add_nc_u32_e32 v130, 0x600, v58
	v_cmp_lt_u16_e64 s1, 51, v57
	v_add_co_u32 v23, s0, 0xffffffe6, v57
	s_wait_alu 0xf1ff
	v_add_co_ci_u32_e64 v24, null, 0, -1, s0
	v_cmp_gt_u16_e64 s0, 26, v57
	v_cndmask_b32_e64 v97, 0, 0x68, s1
	ds_load_2addr_b32 v[18:19], v130 offset0:84 offset1:162
	v_add_nc_u32_e32 v128, 0x800, v58
	v_add_nc_u32_e32 v129, 0x400, v58
	s_wait_alu 0xf1ff
	v_cndmask_b32_e64 v24, v24, v30, s0
	v_cndmask_b32_e64 v23, v23, v28, s0
	v_add_nc_u32_e32 v13, v13, v97
	v_add_nc_u32_e32 v40, 0xc00, v58
	ds_load_2addr_b32 v[14:15], v58 offset1:78
	v_and_b32_e32 v20, 0xffff, v20
	v_lshlrev_b64_e32 v[97:98], 3, v[23:24]
	v_lshrrev_b16 v24, 13, v95
	v_lshl_add_u32 v95, v13, 2, v67
	v_and_b32_e32 v13, 0xffff, v100
	ds_load_2addr_b32 v[16:17], v58 offset0:156 offset1:234
	ds_load_2addr_b32 v[25:26], v128 offset0:112 offset1:190
	;; [unrolled: 1-line block ×4, first 2 shown]
	v_lshrrev_b32_e32 v28, 21, v99
	v_mul_u32_u24_e32 v13, 0x68, v13
	v_mul_u32_u24_e32 v20, 0x68, v20
	v_add_co_u32 v114, s0, s10, v97
	s_delay_alu instid0(VALU_DEP_4)
	v_mul_lo_u16 v28, 0x68, v28
	s_wait_alu 0xf1ff
	v_add_co_ci_u32_e64 v115, s0, s11, v98, s0
	s_wait_dscnt 0x5
	v_lshrrev_b32_e32 v119, 16, v18
	v_mad_u16 v97, 0x68, v101, v107
	v_mad_u16 v98, 0x68, v105, v108
	v_add_nc_u32_e32 v13, v13, v110
	v_add_nc_u32_e32 v20, v20, v111
	v_mad_u16 v99, 0x68, v106, v109
	v_sub_nc_u16 v28, v29, v28
	v_and_b32_e32 v101, 0xffff, v97
	v_and_b32_e32 v105, 0xffff, v98
	v_lshl_add_u32 v97, v13, 2, v67
	v_lshl_add_u32 v98, v20, 2, v67
	v_and_b32_e32 v106, 0xffff, v99
	v_lshlrev_b32_e32 v133, 2, v94
	s_wait_dscnt 0x4
	v_lshrrev_b32_e32 v94, 16, v14
	v_lshrrev_b32_e32 v120, 16, v19
	v_lshlrev_b16 v100, 3, v28
	s_wait_dscnt 0x2
	v_lshrrev_b32_e32 v121, 16, v25
	v_lshrrev_b32_e32 v122, 16, v26
	s_wait_dscnt 0x0
	v_lshrrev_b32_e32 v124, 16, v112
	v_lshrrev_b32_e32 v126, 16, v113
	v_lshl_add_u32 v99, v101, 2, v67
	v_lshl_add_u32 v101, v106, 2, v67
	v_and_b32_e32 v131, 0xffff, v100
	v_lshl_add_u32 v100, v105, 2, v67
	v_lshrrev_b32_e32 v116, 16, v15
	v_lshrrev_b32_e32 v117, 16, v16
	;; [unrolled: 1-line block ×5, first 2 shown]
	v_mul_lo_u16 v30, 0x68, v24
	global_wb scope:SCOPE_SE
	s_wait_loadcnt 0x0
	s_barrier_signal -1
	s_barrier_wait -1
	global_inv scope:SCOPE_SE
	v_sub_nc_u16 v30, v27, v30
	v_and_b32_e32 v28, 0xffff, v28
	s_delay_alu instid0(VALU_DEP_2) | instskip(NEXT) | instid1(VALU_DEP_1)
	v_and_b32_e32 v30, 0xff, v30
	v_lshlrev_b32_e32 v127, 3, v30
	v_lshrrev_b32_e32 v108, 16, v90
	s_delay_alu instid0(VALU_DEP_1) | instskip(SKIP_1) | instid1(VALU_DEP_2)
	v_mul_f16_e32 v13, v119, v108
	v_mul_f16_e32 v20, v18, v108
	v_fma_f16 v13, v18, v90, -v13
	s_delay_alu instid0(VALU_DEP_2)
	v_fmac_f16_e32 v20, v119, v90
	v_lshrrev_b32_e32 v111, 16, v93
	v_lshrrev_b32_e32 v110, 16, v92
	;; [unrolled: 1-line block ×5, first 2 shown]
	v_sub_f16_e32 v13, v14, v13
	v_sub_f16_e32 v18, v94, v20
	v_mul_f16_e32 v20, v120, v111
	v_mul_f16_e32 v105, v19, v111
	;; [unrolled: 1-line block ×3, first 2 shown]
	v_mul_f16_e64 v132, v25, v110
	v_mul_f16_e64 v134, v122, v109
	;; [unrolled: 1-line block ×7, first 2 shown]
	v_fma_f16 v14, v14, 2.0, -v13
	v_fma_f16 v94, v94, 2.0, -v18
	v_pack_b32_f16 v13, v13, v18
	v_fma_f16 v18, v19, v93, -v20
	v_fmac_f16_e32 v105, v120, v93
	v_fma_f16 v19, v25, v92, -v119
	v_fmac_f16_e64 v132, v121, v92
	v_fma_f16 v20, v26, v91, -v134
	v_fmac_f16_e64 v135, v122, v91
	;; [unrolled: 2-line block ×4, first 2 shown]
	v_pack_b32_f16 v14, v14, v94
	v_sub_f16_e32 v18, v15, v18
	v_sub_f16_e32 v94, v116, v105
	;; [unrolled: 1-line block ×3, first 2 shown]
	v_sub_f16_e64 v105, v117, v132
	v_sub_f16_e32 v20, v17, v20
	v_sub_f16_e64 v112, v118, v135
	v_sub_f16_e32 v25, v103, v25
	;; [unrolled: 2-line block ×3, first 2 shown]
	v_sub_f16_e64 v119, v125, v139
	ds_store_2addr_b32 v95, v14, v13 offset1:52
	v_fma_f16 v13, v15, 2.0, -v18
	v_fma_f16 v14, v116, 2.0, -v94
	;; [unrolled: 1-line block ×10, first 2 shown]
	v_pack_b32_f16 v18, v18, v94
	v_pack_b32_f16 v13, v13, v14
	;; [unrolled: 1-line block ×10, first 2 shown]
	ds_store_2addr_b32 v97, v13, v18 offset1:52
	ds_store_2addr_b32 v98, v14, v19 offset1:52
	;; [unrolled: 1-line block ×5, first 2 shown]
	v_add_co_u32 v13, s0, s10, v131
	global_wb scope:SCOPE_SE
	s_wait_dscnt 0x0
	s_barrier_signal -1
	s_barrier_wait -1
	global_inv scope:SCOPE_SE
	global_load_b64 v[19:20], v133, s[10:11] offset:408
	s_wait_alu 0xf1ff
	v_add_co_ci_u32_e64 v14, null, s11, 0, s0
	s_clause 0x2
	global_load_b64 v[17:18], v[114:115], off offset:408
	global_load_b64 v[15:16], v127, s[10:11] offset:408
	global_load_b64 v[13:14], v[13:14], off offset:408
	v_and_b32_e32 v94, 0xffff, v24
	ds_load_2addr_b32 v[24:25], v58 offset1:78
	ds_load_2addr_b32 v[120:121], v129 offset0:56 offset1:134
	ds_load_2addr_b32 v[122:123], v128 offset0:112 offset1:190
	;; [unrolled: 1-line block ×5, first 2 shown]
	v_cmp_lt_u16_e64 s0, 25, v57
	global_wb scope:SCOPE_SE
	s_wait_loadcnt_dscnt 0x0
	s_barrier_signal -1
	s_barrier_wait -1
	global_inv scope:SCOPE_SE
	s_wait_alu 0xf1ff
	v_cndmask_b32_e64 v26, 0, 0x138, s0
	s_add_nc_u64 s[0:1], s[8:9], 0xea0
	s_delay_alu instid0(VALU_DEP_1) | instskip(SKIP_2) | instid1(VALU_DEP_3)
	v_add_nc_u32_e32 v23, v23, v26
	v_mul_u32_u24_e32 v26, 0x138, v94
	v_lshl_add_u32 v94, v28, 2, v67
	v_lshl_add_u32 v104, v23, 2, v67
	s_delay_alu instid0(VALU_DEP_3)
	v_add_nc_u32_e32 v26, v26, v30
	v_lshlrev_b32_e32 v30, 2, v39
	v_lshlrev_b32_e32 v39, 3, v27
	v_lshrrev_b32_e32 v27, 16, v120
	v_lshrrev_b32_e32 v28, 16, v122
	;; [unrolled: 1-line block ×8, first 2 shown]
	v_lshl_add_u32 v103, v26, 2, v67
	v_lshrrev_b32_e32 v26, 16, v24
	v_lshrrev_b32_e32 v105, 16, v25
	;; [unrolled: 1-line block ×4, first 2 shown]
	v_add_nc_u32_e32 v23, 0x800, v94
	v_lshrrev_b32_e32 v119, 16, v19
	v_lshrrev_b32_e32 v118, 16, v20
	;; [unrolled: 1-line block ×8, first 2 shown]
	v_mul_f16_e64 v142, v27, v119
	v_mul_f16_e64 v143, v120, v119
	;; [unrolled: 1-line block ×16, first 2 shown]
	v_fma_f16 v120, v120, v19, -v142
	v_fmac_f16_e64 v143, v27, v19
	v_fma_f16 v27, v122, v20, -v144
	v_fmac_f16_e64 v145, v28, v20
	;; [unrolled: 2-line block ×8, first 2 shown]
	v_add_f16_e64 v132, v120, v27
	v_add_f16_e64 v137, v143, v145
	v_sub_f16_e64 v134, v143, v145
	v_add_f16_e64 v135, v26, v143
	v_add_f16_e64 v140, v28, v121
	;; [unrolled: 1-line block ×6, first 2 shown]
	v_sub_f16_e32 v120, v120, v27
	v_add_f16_e64 v138, v25, v28
	v_sub_f16_e64 v141, v147, v149
	v_add_f16_e64 v142, v105, v147
	v_sub_f16_e64 v147, v151, v153
	v_add_f16_e64 v148, v136, v151
	v_add_f16_e64 v151, v125, v126
	;; [unrolled: 1-line block ×3, first 2 shown]
	v_sub_f16_e64 v154, v155, v157
	v_add_f16_e64 v156, v139, v155
	v_add_f16_e64 v155, v155, v157
	v_fma_f16 v24, -0.5, v132, v24
	v_fmac_f16_e64 v26, -0.5, v137
	v_sub_f16_e32 v28, v28, v121
	v_fmac_f16_e64 v25, -0.5, v140
	v_fmac_f16_e64 v105, -0.5, v143
	v_add_f16_e64 v144, v124, v122
	v_sub_f16_e32 v122, v122, v123
	v_fma_f16 v124, -0.5, v146, v124
	v_fmac_f16_e64 v136, -0.5, v150
	v_sub_f16_e32 v126, v126, v127
	v_add_f16_e64 v27, v131, v27
	v_add_f16_e64 v131, v135, v145
	;; [unrolled: 1-line block ×4, first 2 shown]
	v_fmac_f16_e64 v125, -0.5, v152
	v_add_f16_e64 v137, v156, v157
	v_fmac_f16_e64 v139, -0.5, v155
	v_fma_f16 v138, 0x3aee, v134, v24
	v_fmac_f16_e64 v24, 0xbaee, v134
	v_fma_f16 v134, 0xbaee, v120, v26
	v_fmac_f16_e32 v26, 0x3aee, v120
	v_add_f16_e64 v132, v142, v149
	v_fma_f16 v120, 0x3aee, v141, v25
	v_fma_f16 v140, 0xbaee, v28, v105
	v_fmac_f16_e64 v25, 0xbaee, v141
	v_fmac_f16_e32 v105, 0x3aee, v28
	v_add_f16_e64 v123, v144, v123
	v_add_f16_e64 v135, v148, v153
	v_fma_f16 v28, 0x3aee, v147, v124
	v_fma_f16 v141, 0xbaee, v122, v136
	v_fmac_f16_e64 v124, 0xbaee, v147
	v_fmac_f16_e64 v136, 0x3aee, v122
	v_fma_f16 v122, 0x3aee, v154, v125
	v_fmac_f16_e64 v125, 0xbaee, v154
	v_fma_f16 v142, 0xbaee, v126, v139
	v_fmac_f16_e64 v139, 0x3aee, v126
	v_pack_b32_f16 v27, v27, v131
	v_pack_b32_f16 v126, v127, v137
	;; [unrolled: 1-line block ×12, first 2 shown]
	ds_store_2addr_b32 v58, v27, v127 offset1:104
	ds_store_b32 v58, v24 offset:832
	ds_store_2addr_b32 v104, v121, v26 offset1:104
	ds_store_b32 v104, v25 offset:832
	;; [unrolled: 2-line block ×3, first 2 shown]
	ds_store_2addr_b32 v23, v126, v120 offset0:112 offset1:216
	ds_store_b32 v94, v122 offset:3328
	global_wb scope:SCOPE_SE
	s_wait_dscnt 0x0
	s_barrier_signal -1
	s_barrier_wait -1
	global_inv scope:SCOPE_SE
	global_load_b64 v[27:28], v133, s[10:11] offset:1240
	v_lshlrev_b32_e32 v23, 3, v29
	s_clause 0x2
	global_load_b64 v[29:30], v30, s[10:11] offset:1240
	global_load_b64 v[25:26], v39, s[10:11] offset:1240
	global_load_b64 v[23:24], v23, s[10:11] offset:1240
	ds_load_2addr_b32 v[131:132], v58 offset1:78
	ds_load_2addr_b32 v[133:134], v129 offset0:56 offset1:134
	ds_load_2addr_b32 v[135:136], v128 offset0:112 offset1:190
	;; [unrolled: 1-line block ×5, first 2 shown]
	v_lshl_add_u32 v105, v57, 2, v67
	v_lshlrev_b32_e32 v39, 2, v57
	s_wait_dscnt 0x5
	v_lshrrev_b32_e32 v143, 16, v131
	s_wait_dscnt 0x4
	v_lshrrev_b32_e32 v144, 16, v133
	;; [unrolled: 2-line block ×3, first 2 shown]
	v_lshrrev_b32_e32 v147, 16, v134
	v_lshrrev_b32_e32 v148, 16, v136
	s_wait_dscnt 0x1
	v_lshrrev_b32_e32 v150, 16, v139
	s_wait_dscnt 0x0
	v_lshrrev_b32_e32 v151, 16, v141
	v_lshrrev_b32_e32 v153, 16, v140
	v_lshrrev_b32_e32 v154, 16, v142
	v_lshrrev_b32_e32 v146, 16, v132
	v_lshrrev_b32_e32 v149, 16, v137
	v_lshrrev_b32_e32 v152, 16, v138
	s_wait_loadcnt 0x3
	v_lshrrev_b32_e32 v127, 16, v27
	v_lshrrev_b32_e32 v126, 16, v28
	s_wait_loadcnt 0x2
	v_lshrrev_b32_e32 v125, 16, v29
	v_lshrrev_b32_e32 v124, 16, v30
	;; [unrolled: 3-line block ×4, first 2 shown]
	v_mul_f16_e64 v155, v144, v127
	v_mul_f16_e64 v156, v133, v127
	;; [unrolled: 1-line block ×16, first 2 shown]
	v_fma_f16 v133, v133, v27, -v155
	v_fmac_f16_e64 v156, v144, v27
	v_fma_f16 v135, v135, v28, -v157
	v_fmac_f16_e64 v158, v145, v28
	;; [unrolled: 2-line block ×8, first 2 shown]
	v_add_f16_e64 v145, v133, v135
	v_add_f16_e64 v150, v156, v158
	v_sub_f16_e64 v147, v156, v158
	v_add_f16_e64 v148, v143, v156
	v_add_f16_e64 v153, v134, v136
	;; [unrolled: 1-line block ×4, first 2 shown]
	v_sub_f16_e64 v133, v133, v135
	v_add_f16_e64 v151, v132, v134
	v_sub_f16_e64 v154, v160, v162
	v_add_f16_e64 v155, v146, v160
	v_add_f16_e64 v157, v137, v139
	;; [unrolled: 1-line block ×3, first 2 shown]
	v_sub_f16_e64 v160, v164, v166
	v_add_f16_e64 v161, v149, v164
	v_add_f16_e64 v163, v164, v166
	v_add_f16_e64 v164, v138, v140
	v_add_f16_e64 v165, v140, v142
	v_sub_f16_e64 v167, v168, v170
	v_add_f16_e64 v169, v152, v168
	v_add_f16_e64 v168, v168, v170
	v_fma_f16 v131, -0.5, v145, v131
	v_fmac_f16_e64 v143, -0.5, v150
	v_sub_f16_e64 v134, v134, v136
	v_fmac_f16_e64 v132, -0.5, v153
	v_fmac_f16_e64 v146, -0.5, v156
	v_sub_f16_e64 v139, v139, v141
	v_sub_f16_e64 v140, v140, v142
	v_add_f16_e64 v135, v144, v135
	v_add_f16_e64 v144, v148, v158
	;; [unrolled: 1-line block ×4, first 2 shown]
	v_fma_f16 v137, -0.5, v159, v137
	v_add_f16_e64 v148, v161, v166
	v_fmac_f16_e64 v149, -0.5, v163
	v_add_f16_e64 v142, v164, v142
	v_fmac_f16_e64 v138, -0.5, v165
	;; [unrolled: 2-line block ×3, first 2 shown]
	v_fma_f16 v151, 0x3aee, v147, v131
	v_fmac_f16_e64 v131, 0xbaee, v147
	v_fma_f16 v147, 0xbaee, v133, v143
	v_fmac_f16_e64 v143, 0x3aee, v133
	v_add_f16_e64 v145, v155, v162
	v_fma_f16 v133, 0x3aee, v154, v132
	v_fma_f16 v153, 0xbaee, v134, v146
	v_fmac_f16_e64 v132, 0xbaee, v154
	v_fmac_f16_e64 v146, 0x3aee, v134
	v_fma_f16 v134, 0x3aee, v160, v137
	v_fmac_f16_e64 v137, 0xbaee, v160
	v_fma_f16 v154, 0xbaee, v139, v149
	;; [unrolled: 2-line block ×4, first 2 shown]
	v_fmac_f16_e64 v152, 0x3aee, v140
	v_pack_b32_f16 v140, v141, v148
	v_pack_b32_f16 v141, v142, v150
	;; [unrolled: 1-line block ×12, first 2 shown]
	ds_store_b32 v58, v142 offset:1248
	ds_store_b32 v105, v131 offset:2496
	ds_store_2addr_b32 v58, v135, v136 offset1:78
	ds_store_b32 v105, v133 offset:1560
	ds_store_b32 v105, v132 offset:2808
	ds_store_2addr_b32 v58, v140, v141 offset0:156 offset1:234
	ds_store_2addr_b32 v130, v134, v139 offset0:84 offset1:162
	ds_store_2addr_b32 v40, v137, v138 offset0:12 offset1:90
	global_wb scope:SCOPE_SE
	s_wait_dscnt 0x0
	s_barrier_signal -1
	s_barrier_wait -1
	global_inv scope:SCOPE_SE
	s_clause 0xb
	global_load_b32 v141, v[21:22], off offset:3744
	global_load_b32 v142, v39, s[0:1] offset:1872
	global_load_b32 v143, v39, s[0:1] offset:312
	;; [unrolled: 1-line block ×11, first 2 shown]
	ds_load_2addr_b32 v[21:22], v58 offset1:78
	ds_load_2addr_b32 v[131:132], v130 offset0:84 offset1:162
	ds_load_2addr_b32 v[133:134], v58 offset0:156 offset1:234
	;; [unrolled: 1-line block ×5, first 2 shown]
	s_wait_dscnt 0x5
	v_lshrrev_b32_e32 v152, 16, v21
	v_lshrrev_b32_e32 v154, 16, v22
	s_wait_dscnt 0x4
	v_lshrrev_b32_e32 v153, 16, v131
	v_lshrrev_b32_e32 v155, 16, v132
	;; [unrolled: 3-line block ×4, first 2 shown]
	s_wait_dscnt 0x1
	v_lshrrev_b32_e32 v160, 16, v137
	s_wait_dscnt 0x0
	v_lshrrev_b32_e32 v161, 16, v139
	v_lshrrev_b32_e32 v162, 16, v138
	;; [unrolled: 1-line block ×3, first 2 shown]
	s_wait_loadcnt 0xb
	v_lshrrev_b32_e32 v164, 16, v141
	s_wait_loadcnt 0xa
	v_lshrrev_b32_e32 v165, 16, v142
	;; [unrolled: 2-line block ×12, first 2 shown]
	v_mul_f16_e64 v176, v152, v164
	v_mul_f16_e64 v164, v21, v164
	;; [unrolled: 1-line block ×24, first 2 shown]
	v_fma_f16 v21, v21, v141, -v176
	v_fmac_f16_e64 v164, v152, v141
	v_fma_f16 v22, v22, v143, -v178
	v_fmac_f16_e64 v166, v154, v143
	;; [unrolled: 2-line block ×12, first 2 shown]
	v_pack_b32_f16 v21, v21, v164
	v_pack_b32_f16 v22, v22, v166
	;; [unrolled: 1-line block ×12, first 2 shown]
	ds_store_2addr_b32 v58, v21, v22 offset1:78
	ds_store_2addr_b32 v130, v39, v131 offset0:84 offset1:162
	ds_store_2addr_b32 v58, v132, v134 offset0:156 offset1:234
	;; [unrolled: 1-line block ×5, first 2 shown]
	global_wb scope:SCOPE_SE
	s_wait_dscnt 0x0
	s_barrier_signal -1
	s_barrier_wait -1
	global_inv scope:SCOPE_SE
	ds_load_2addr_b32 v[21:22], v58 offset1:78
	ds_load_2addr_b32 v[131:132], v130 offset0:84 offset1:162
	ds_load_2addr_b32 v[133:134], v58 offset0:156 offset1:234
	;; [unrolled: 1-line block ×5, first 2 shown]
	global_wb scope:SCOPE_SE
	s_wait_dscnt 0x0
	s_barrier_signal -1
	s_barrier_wait -1
	global_inv scope:SCOPE_SE
	v_pk_add_f16 v141, v21, v131 neg_lo:[0,1] neg_hi:[0,1]
	v_pk_add_f16 v132, v22, v132 neg_lo:[0,1] neg_hi:[0,1]
	;; [unrolled: 1-line block ×6, first 2 shown]
	v_pk_fma_f16 v140, v21, 2.0, v141 op_sel_hi:[1,0,1] neg_lo:[0,0,1] neg_hi:[0,0,1]
	v_pk_fma_f16 v131, v22, 2.0, v132 op_sel_hi:[1,0,1] neg_lo:[0,0,1] neg_hi:[0,0,1]
	;; [unrolled: 1-line block ×6, first 2 shown]
	ds_store_b64 v37, v[140:141]
	ds_store_b64 v36, v[131:132]
	;; [unrolled: 1-line block ×6, first 2 shown]
	global_wb scope:SCOPE_SE
	s_wait_dscnt 0x0
	s_barrier_signal -1
	s_barrier_wait -1
	global_inv scope:SCOPE_SE
	ds_load_2addr_b32 v[142:143], v58 offset1:78
	ds_load_2addr_b32 v[21:22], v130 offset0:84 offset1:162
	ds_load_2addr_b32 v[144:145], v58 offset0:156 offset1:234
	;; [unrolled: 1-line block ×5, first 2 shown]
	global_wb scope:SCOPE_SE
	s_wait_dscnt 0x0
	s_barrier_signal -1
	s_barrier_wait -1
	global_inv scope:SCOPE_SE
	v_lshrrev_b32_e32 v36, 16, v142
	v_lshrrev_b32_e32 v37, 16, v21
	v_lshrrev_b32_e32 v40, 16, v22
	v_lshrrev_b32_e32 v130, 16, v32
	v_mul_f16_e64 v137, v38, v22
	v_lshrrev_b32_e32 v131, 16, v33
	v_lshrrev_b32_e32 v132, 16, v34
	v_mul_f16_e64 v135, v38, v21
	v_lshrrev_b32_e32 v133, 16, v35
	v_mul_f16_e64 v150, v38, v37
	v_mul_f16_e64 v149, v38, v35
	;; [unrolled: 1-line block ×4, first 2 shown]
	v_fma_f16 v40, v31, v40, -v137
	v_mul_f16_e64 v137, v38, v130
	v_mul_f16_e64 v139, v38, v33
	;; [unrolled: 1-line block ×4, first 2 shown]
	v_fma_f16 v37, v31, v37, -v135
	v_mul_f16_e64 v153, v38, v132
	v_mul_f16_e64 v154, v38, v133
	v_fmac_f16_e64 v150, v31, v21
	v_lshrrev_b32_e32 v39, 16, v143
	v_lshrrev_b32_e32 v148, 16, v147
	v_fma_f16 v38, v31, v133, -v149
	v_fmac_f16_e64 v151, v31, v22
	v_lshrrev_b32_e32 v134, 16, v144
	v_fma_f16 v130, v31, v130, -v138
	v_fmac_f16_e64 v137, v31, v32
	;; [unrolled: 3-line block ×4, first 2 shown]
	v_sub_f16_e64 v133, v36, v37
	v_fmac_f16_e64 v154, v31, v35
	v_sub_f16_e64 v22, v142, v150
	v_sub_f16_e64 v138, v39, v40
	;; [unrolled: 1-line block ×9, first 2 shown]
	v_fma_f16 v130, v36, 2.0, -v133
	v_sub_f16_e64 v36, v146, v153
	v_sub_f16_e64 v40, v147, v154
	v_fma_f16 v21, v142, 2.0, -v22
	v_fma_f16 v139, v39, 2.0, -v138
	;; [unrolled: 1-line block ×11, first 2 shown]
	v_pack_b32_f16 v142, v22, v133
	v_pack_b32_f16 v148, v21, v130
	;; [unrolled: 1-line block ×12, first 2 shown]
	ds_store_2addr_b32 v72, v148, v142 offset1:2
	ds_store_2addr_b32 v73, v149, v143 offset1:2
	;; [unrolled: 1-line block ×6, first 2 shown]
	global_wb scope:SCOPE_SE
	s_wait_dscnt 0x0
	s_barrier_signal -1
	s_barrier_wait -1
	global_inv scope:SCOPE_SE
	s_and_saveexec_b32 s0, vcc_lo
	s_cbranch_execz .LBB0_7
; %bb.6:
	v_add_nc_u32_e32 v39, 0xa00, v58
	ds_load_2addr_b32 v[21:22], v58 offset1:72
	ds_load_2addr_b32 v[37:38], v58 offset0:144 offset1:216
	ds_load_2addr_b32 v[33:34], v129 offset0:32 offset1:104
	ds_load_2addr_b32 v[31:32], v129 offset0:176 offset1:248
	ds_load_2addr_b32 v[35:36], v128 offset0:64 offset1:136
	ds_load_2addr_b32 v[39:40], v39 offset0:80 offset1:152
	ds_load_b32 v96, v58 offset:3456
	s_wait_dscnt 0x6
	v_lshrrev_b32_e32 v130, 16, v21
	v_lshrrev_b32_e32 v133, 16, v22
	s_wait_dscnt 0x5
	v_lshrrev_b32_e32 v139, 16, v37
	v_lshrrev_b32_e32 v138, 16, v38
	;; [unrolled: 3-line block ×6, first 2 shown]
	s_wait_dscnt 0x0
	v_lshrrev_b32_e32 v102, 16, v96
.LBB0_7:
	s_wait_alu 0xfffe
	s_or_b32 exec_lo, exec_lo, s0
	v_add_nc_u32_e32 v73, 0x270, v58
	v_add_nc_u32_e32 v72, 0x3a8, v58
	global_wb scope:SCOPE_SE
	s_barrier_signal -1
	s_barrier_wait -1
	global_inv scope:SCOPE_SE
	s_and_saveexec_b32 s0, vcc_lo
	s_cbranch_execz .LBB0_9
; %bb.8:
	v_mul_f16_e64 v76, v86, v133
	v_mul_f16_e32 v74, v87, v102
	v_mul_f16_e32 v75, v87, v96
	;; [unrolled: 1-line block ×3, first 2 shown]
	v_mul_f16_e64 v86, v84, v139
	v_fmac_f16_e32 v76, v4, v22
	v_fmac_f16_e32 v74, v11, v96
	v_mul_f16_e64 v22, v85, v141
	v_fma_f16 v11, v11, v102, -v75
	v_fma_f16 v77, v4, v133, -v77
	v_mul_f16_e32 v4, v85, v40
	v_sub_f16_e32 v75, v76, v74
	v_fmac_f16_e32 v86, v5, v37
	v_fmac_f16_e32 v22, v10, v40
	v_mul_f16_e32 v85, v84, v37
	v_add_f16_e32 v87, v11, v77
	v_mul_f16_e64 v133, 0xba95, v75
	v_mul_f16_e64 v84, v82, v138
	v_mul_f16_e64 v37, v83, v140
	v_sub_f16_e32 v40, v86, v22
	v_fma_f16 v4, v10, v141, -v4
	v_fma_f16 v85, v5, v139, -v85
	v_mul_f16_e32 v5, v83, v39
	v_fma_f16 v102, 0x388b, v87, v133
	v_fmac_f16_e32 v84, v6, v38
	v_fmac_f16_e32 v37, v9, v39
	v_mul_f16_e32 v38, v82, v38
	v_mul_f16_e64 v141, 0xbb7b, v40
	v_add_f16_e32 v96, v4, v85
	v_fma_f16 v5, v9, v140, -v5
	v_mul_f16_e64 v39, v80, v137
	v_mul_f16_e64 v9, v81, v135
	v_sub_f16_e32 v10, v84, v37
	v_fma_f16 v38, v6, v138, -v38
	v_add_f16_e64 v6, v130, v102
	v_fma_f16 v82, 0xb5ac, v96, v141
	v_fmac_f16_e32 v39, v7, v33
	v_fmac_f16_e32 v9, v8, v36
	v_mul_f16_e32 v81, v81, v36
	v_mul_f16_e32 v80, v80, v33
	v_mul_f16_e64 v36, v78, v132
	v_mul_f16_e64 v33, v79, v136
	;; [unrolled: 1-line block ×3, first 2 shown]
	v_add_f16_e32 v102, v5, v38
	v_add_f16_e32 v82, v82, v6
	v_sub_f16_e32 v6, v39, v9
	v_fma_f16 v8, v8, v135, -v81
	v_fma_f16 v80, v7, v137, -v80
	v_fmac_f16_e32 v36, v0, v34
	v_fmac_f16_e32 v33, v3, v35
	v_mul_f16_e32 v35, v79, v35
	v_mul_f16_e32 v34, v78, v34
	v_fma_f16 v83, 0xbbc4, v102, v138
	v_mul_f16_e64 v144, 0x394e, v6
	v_add_f16_e64 v135, v8, v80
	v_sub_f16_e32 v7, v36, v33
	v_fma_f16 v3, v3, v136, -v35
	v_fma_f16 v35, v0, v132, -v34
	v_add_f16_e32 v0, v83, v82
	v_fma_f16 v34, 0xb9fd, v135, v144
	v_mul_f16_e64 v143, 0x3bf1, v7
	v_sub_f16_e64 v142, v77, v11
	v_add_f16_e32 v83, v3, v35
	v_mul_f16_e64 v79, v70, v134
	v_add_f16_e32 v0, v34, v0
	v_mul_f16_e64 v78, v71, v131
	v_mul_f16_e64 v147, 0xba95, v142
	v_fma_f16 v34, 0x2fb7, v83, v143
	v_sub_f16_e64 v136, v85, v4
	v_fmac_f16_e32 v79, v1, v31
	v_fmac_f16_e32 v78, v2, v32
	v_mul_f16_e32 v32, v71, v32
	v_add_f16_e32 v81, v34, v0
	v_add_f16_e32 v34, v74, v76
	v_mul_f16_e32 v70, v70, v31
	v_add_f16_e32 v31, v22, v86
	v_mul_f16_e64 v148, 0xbb7b, v136
	v_sub_f16_e64 v132, v38, v5
	v_fma_f16 v71, v34, 0x388b, -v147
	v_sub_f16_e32 v0, v79, v78
	v_fma_f16 v82, v2, v131, -v32
	v_fma_f16 v128, v1, v134, -v70
	;; [unrolled: 1-line block ×3, first 2 shown]
	v_add_f16_e32 v1, v21, v71
	v_add_f16_e32 v2, v37, v84
	v_mul_f16_e64 v149, 0xb3a8, v132
	v_sub_f16_e64 v134, v80, v8
	v_mul_f16_e64 v146, 0x3770, v0
	v_add_f16_e64 v131, v82, v128
	v_add_f16_e32 v1, v32, v1
	v_fma_f16 v70, v2, 0xbbc4, -v149
	v_add_f16_e32 v32, v9, v39
	v_mul_f16_e64 v150, 0x394e, v134
	v_fma_f16 v71, 0x3b15, v131, v146
	v_sub_f16_e64 v137, v35, v3
	v_add_f16_e64 v129, v70, v1
	v_mul_f16_e64 v151, 0xbbf1, v75
	v_fma_f16 v139, v32, 0xb9fd, -v150
	v_add_f16_e32 v1, v71, v81
	v_add_f16_e32 v70, v33, v36
	v_mul_f16_e64 v152, 0x3bf1, v137
	v_sub_f16_e64 v140, v128, v82
	v_add_f16_e64 v81, v139, v129
	v_fma_f16 v129, 0x2fb7, v87, v151
	v_mul_f16_e64 v153, 0xb3a8, v40
	v_fma_f16 v139, v70, 0x2fb7, -v152
	v_add_f16_e32 v71, v78, v79
	v_mul_f16_e64 v154, 0x3770, v140
	v_add_f16_e64 v129, v130, v129
	v_fma_f16 v145, 0xbbc4, v96, v153
	v_mul_f16_e64 v155, 0x3b7b, v10
	v_add_f16_e64 v81, v139, v81
	v_fma_f16 v139, v71, 0x3b15, -v154
	v_mul_f16_e64 v156, 0xbbf1, v142
	v_add_f16_e64 v129, v145, v129
	v_fma_f16 v145, 0xb5ac, v102, v155
	v_mul_f16_e64 v157, 0x3770, v6
	v_add_f16_e64 v81, v139, v81
	v_fma_f16 v139, v34, 0x2fb7, -v156
	;; [unrolled: 6-line block ×14, first 2 shown]
	v_mul_f16_e64 v186, 0x3bf1, v136
	v_add_f16_e64 v168, v182, v168
	v_fma_f16 v182, 0xbbc4, v135, v185
	v_mul_f16_e64 v187, 0x3770, v7
	v_fma_f16 v133, v87, 0x388b, -v133
	v_add_f16_e64 v174, v21, v174
	v_fma_f16 v188, v31, 0x2fb7, -v186
	v_mul_f16_e64 v189, 0xba95, v132
	v_add_f16_e64 v168, v182, v168
	v_fma_f16 v182, 0x3b15, v83, v187
	v_mul_f16_e64 v190, 0xbb7b, v0
	v_add_f16_e32 v76, v21, v76
	v_add_f16_e64 v133, v130, v133
	v_fma_f16 v141, v96, 0xb5ac, -v141
	v_add_f16_e64 v174, v188, v174
	v_fma_f16 v188, v2, 0x388b, -v189
	v_mul_f16_e64 v191, 0x33a8, v134
	v_add_f16_e64 v168, v182, v168
	v_fma_f16 v182, 0xb5ac, v131, v190
	v_mul_f16_e64 v192, 0xb3a8, v75
	v_add_f16_e32 v76, v86, v76
	v_fmac_f16_e64 v147, 0x388b, v34
	v_add_f16_e64 v133, v141, v133
	v_fma_f16 v138, v102, 0xbbc4, -v138
	v_add_f16_e64 v77, v77, v130
	v_add_f16_e64 v174, v188, v174
	v_fma_f16 v188, v32, 0xbbc4, -v191
	v_mul_f16_e64 v193, 0x3770, v137
	v_add_f16_e64 v168, v182, v168
	v_fma_f16 v182, 0xbbc4, v87, v192
	v_mul_f16_e64 v194, 0x3770, v40
	v_add_f16_e32 v76, v84, v76
	v_fma_f16 v192, v87, 0xbbc4, -v192
	v_fma_f16 v178, v87, 0xb9fd, -v178
	v_fma_f16 v164, v87, 0xb5ac, -v164
	v_fma_f16 v151, v87, 0x2fb7, -v151
	v_add_f16_e64 v147, v21, v147
	v_fmac_f16_e64 v148, 0xb5ac, v31
	v_add_f16_e64 v133, v138, v133
	v_fma_f16 v138, v135, 0xb9fd, -v144
	v_mul_f16_e32 v87, 0x3b15, v87
	v_add_f16_e32 v77, v85, v77
	v_add_f16_e64 v174, v188, v174
	v_fma_f16 v188, v70, 0x3b15, -v193
	v_mul_f16_e64 v195, 0xbb7b, v140
	v_add_f16_e64 v182, v130, v182
	v_fma_f16 v196, 0x3b15, v96, v194
	v_mul_f16_e64 v197, 0xb94e, v10
	v_add_f16_e32 v39, v39, v76
	v_add_f16_e64 v192, v130, v192
	v_fma_f16 v194, v96, 0x3b15, -v194
	v_add_f16_e64 v178, v130, v178
	v_fma_f16 v180, v96, 0x2fb7, -v180
	;; [unrolled: 2-line block ×4, first 2 shown]
	v_add_f16_e64 v144, v148, v147
	v_fmac_f16_e64 v149, 0xbbc4, v2
	v_add_f16_e64 v133, v138, v133
	v_fma_f16 v138, 0x3770, v75, v87
	v_mul_f16_e32 v96, 0x388b, v96
	v_add_f16_e32 v38, v38, v77
	v_add_f16_e64 v174, v188, v174
	v_fma_f16 v188, v71, 0xb5ac, -v195
	v_mul_f16_e64 v198, 0xb3a8, v142
	v_add_f16_e64 v182, v196, v182
	v_fma_f16 v196, 0xb9fd, v102, v197
	v_mul_f16_e64 v199, 0x3a95, v6
	v_add_f16_e32 v36, v36, v39
	v_add_f16_e64 v192, v194, v192
	v_fma_f16 v194, v102, 0xb9fd, -v197
	v_add_f16_e64 v178, v180, v178
	v_fma_f16 v180, v102, 0x388b, -v183
	;; [unrolled: 2-line block ×4, first 2 shown]
	v_fma_f16 v143, v83, 0x2fb7, -v143
	v_add_f16_e64 v144, v149, v144
	v_fmac_f16_e64 v150, 0xb9fd, v32
	v_add_f16_e64 v138, v130, v138
	v_fma_f16 v147, 0x3a95, v40, v96
	v_mul_f16_e32 v102, 0x2fb7, v102
	v_add_f16_e32 v38, v80, v38
	v_add_f16_e64 v174, v188, v174
	v_fma_f16 v188, v34, 0xbbc4, -v198
	v_mul_f16_e64 v200, 0x3770, v136
	v_add_f16_e64 v182, v196, v182
	v_fma_f16 v196, 0x388b, v135, v199
	v_mul_f16_e64 v201, 0xbb7b, v7
	v_add_f16_e32 v36, v79, v36
	v_add_f16_e64 v192, v194, v192
	v_fma_f16 v194, v135, 0x388b, -v199
	v_add_f16_e64 v178, v180, v178
	v_fma_f16 v180, v135, 0xbbc4, -v185
	;; [unrolled: 2-line block ×4, first 2 shown]
	v_add_f16_e64 v133, v143, v133
	v_add_f16_e64 v143, v150, v144
	;; [unrolled: 1-line block ×3, first 2 shown]
	v_fma_f16 v144, 0x3bf1, v10, v102
	v_fma_f16 v146, v131, 0x3b15, -v146
	v_mul_f16_e64 v135, 0xb5ac, v135
	v_mul_f16_e64 v142, 0xb770, v142
	v_add_f16_e32 v35, v35, v38
	v_add_f16_e64 v188, v21, v188
	v_fma_f16 v202, v31, 0x3b15, -v200
	v_mul_f16_e64 v203, 0xb94e, v132
	v_add_f16_e64 v182, v196, v182
	v_fma_f16 v196, 0xb5ac, v83, v201
	v_mul_f16_e64 v204, 0x3bf1, v0
	v_add_f16_e32 v36, v78, v36
	v_add_f16_e64 v138, v144, v138
	v_fma_f16 v144, 0x3b7b, v6, v135
	v_add_f16_e64 v133, v146, v133
	v_fma_f16 v146, 0x3b15, v34, v142
	v_mul_f16_e64 v136, 0xba95, v136
	v_add_f16_e64 v35, v128, v35
	v_add_f16_e64 v188, v202, v188
	v_fma_f16 v202, v2, 0xb9fd, -v203
	v_mul_f16_e64 v205, 0x3a95, v134
	v_add_f16_e64 v182, v196, v182
	v_fma_f16 v196, 0x2fb7, v131, v204
	v_fmac_f16_e64 v156, 0x2fb7, v34
	v_add_f16_e32 v33, v33, v36
	v_add_f16_e64 v192, v194, v192
	v_fma_f16 v194, v83, 0xb5ac, -v201
	v_fmac_f16_e64 v184, 0xb9fd, v34
	v_add_f16_e64 v178, v180, v178
	v_fma_f16 v180, v83, 0x3b15, -v187
	v_fmac_f16_e64 v170, 0xb5ac, v34
	v_add_f16_e64 v164, v166, v164
	v_fma_f16 v166, v83, 0xbbc4, -v173
	v_add_f16_e64 v151, v153, v151
	v_fma_f16 v153, v83, 0x388b, -v159
	v_add_f16_e64 v138, v144, v138
	v_mul_f16_e32 v83, 0xb9fd, v83
	v_add_f16_e64 v86, v21, v146
	v_fma_f16 v144, 0x388b, v31, v136
	v_mul_f16_e64 v132, 0xbbf1, v132
	v_add_f16_e32 v35, v82, v35
	v_fmac_f16_e32 v87, 0xb770, v75
	v_add_f16_e64 v188, v202, v188
	v_fma_f16 v202, v32, 0x388b, -v205
	v_add_f16_e64 v182, v196, v182
	v_mul_f16_e64 v196, 0xbb7b, v137
	v_fmac_f16_e64 v198, 0xbbc4, v34
	v_add_f16_e64 v156, v21, v156
	v_fmac_f16_e64 v158, 0xbbc4, v31
	v_add_f16_e32 v9, v9, v33
	v_fma_f16 v33, v34, 0x3b15, -v142
	v_add_f16_e64 v184, v21, v184
	v_fmac_f16_e64 v186, 0x2fb7, v31
	v_add_f16_e64 v170, v21, v170
	v_fmac_f16_e64 v172, 0xb9fd, v31
	v_fmamk_f16 v84, v7, 0x394e, v83
	v_add_f16_e64 v85, v144, v86
	v_fma_f16 v86, 0x2fb7, v2, v132
	v_mul_f16_e64 v76, 0xbb7b, v134
	v_add_f16_e32 v3, v3, v35
	v_add_f16_e64 v34, v130, v87
	v_fmac_f16_e32 v96, 0xba95, v40
	v_add_f16_e64 v188, v202, v188
	v_fma_f16 v197, v70, 0xb5ac, -v196
	v_mul_f16_e64 v202, 0x3bf1, v140
	v_add_f16_e64 v198, v21, v198
	v_fmac_f16_e64 v200, 0x3b15, v31
	v_add_f16_e64 v156, v158, v156
	v_fmac_f16_e64 v161, 0xb5ac, v2
	v_add_f16_e32 v21, v21, v33
	v_fma_f16 v31, v31, 0x388b, -v136
	v_add_f16_e64 v184, v186, v184
	v_fmac_f16_e64 v189, 0x388b, v2
	v_add_f16_e64 v170, v172, v170
	v_fmac_f16_e64 v175, 0x3b15, v2
	v_add_f16_e64 v77, v84, v138
	v_add_f16_e32 v84, v86, v85
	v_fmamk_f16 v39, v32, 0xb5ac, v76
	v_mul_f16_e64 v80, 0xb94e, v137
	v_add_f16_e32 v3, v8, v3
	v_add_f16_e32 v8, v96, v34
	v_fmac_f16_e32 v102, 0xbbf1, v10
	v_add_f16_e64 v188, v197, v188
	v_fma_f16 v197, v71, 0x2fb7, -v202
	v_add_f16_e64 v198, v200, v198
	v_fmac_f16_e64 v203, 0xb9fd, v2
	v_add_f16_e64 v156, v161, v156
	v_fmac_f16_e64 v163, 0x3b15, v32
	v_add_f16_e32 v10, v31, v21
	v_fma_f16 v2, v2, 0x2fb7, -v132
	v_add_f16_e64 v184, v189, v184
	v_fmac_f16_e64 v191, 0xbbc4, v32
	v_add_f16_e64 v164, v166, v164
	v_add_f16_e64 v166, v175, v170
	v_fmac_f16_e64 v177, 0x2fb7, v32
	v_mul_f16_e64 v85, 0xbbc4, v131
	v_add_f16_e32 v39, v39, v84
	v_fmamk_f16 v38, v70, 0xb9fd, v80
	v_mul_f16_e64 v79, 0xb3a8, v140
	v_add_f16_e32 v9, v37, v9
	v_add_f16_e32 v3, v5, v3
	;; [unrolled: 1-line block ×3, first 2 shown]
	v_fmac_f16_e64 v135, 0xbb7b, v6
	v_add_f16_e64 v188, v197, v188
	v_add_f16_e64 v197, v203, v198
	v_fmac_f16_e64 v205, 0x388b, v32
	v_add_f16_e64 v156, v163, v156
	v_fmac_f16_e64 v165, 0x388b, v70
	v_fmac_f16_e64 v152, 0x2fb7, v70
	v_add_f16_e32 v2, v2, v10
	v_fma_f16 v8, v32, 0xb5ac, -v76
	v_add_f16_e64 v169, v191, v184
	v_fmac_f16_e64 v193, 0x3b15, v70
	v_add_f16_e64 v155, v177, v166
	v_fmac_f16_e64 v179, 0xbbc4, v70
	v_fmamk_f16 v78, v0, 0x33a8, v85
	v_add_f16_e32 v38, v38, v39
	v_fmamk_f16 v39, v71, 0xbbc4, v79
	v_add_f16_e32 v9, v22, v9
	v_add_f16_e32 v3, v4, v3
	v_add_f16_e64 v4, v135, v5
	v_mul_u32_u24_e32 v5, 52, v69
	v_add_f16_e64 v197, v205, v197
	v_fmac_f16_e64 v196, 0xb5ac, v70
	v_add_f16_e64 v151, v153, v151
	v_fma_f16 v153, v131, 0xb9fd, -v162
	v_add_f16_e64 v141, v165, v156
	v_fmac_f16_e64 v167, 0xb9fd, v71
	v_add_f16_e64 v143, v152, v143
	v_fmac_f16_e64 v154, 0x3b15, v71
	v_fmac_f16_e32 v83, 0xb94e, v7
	v_add_f16_e32 v2, v8, v2
	v_fma_f16 v7, v70, 0xb9fd, -v80
	v_add_f16_e64 v178, v180, v178
	v_fma_f16 v180, v131, 0xb5ac, -v190
	v_add_f16_e64 v169, v193, v169
	v_fmac_f16_e64 v195, 0xb5ac, v71
	v_fma_f16 v170, v131, 0x388b, -v176
	v_add_f16_e64 v155, v179, v155
	v_fmac_f16_e64 v181, 0x388b, v71
	v_add_f16_e32 v36, v78, v77
	v_add_f16_e32 v38, v39, v38
	;; [unrolled: 1-line block ×4, first 2 shown]
	v_or_b32_e32 v5, v5, v68
	v_add_f16_e64 v192, v194, v192
	v_fma_f16 v194, v131, 0x2fb7, -v204
	v_add_f16_e64 v183, v196, v197
	v_fmac_f16_e64 v202, 0x2fb7, v71
	v_add_f16_e64 v151, v153, v151
	v_add_f16_e64 v141, v167, v141
	;; [unrolled: 1-line block ×3, first 2 shown]
	v_add_f16_e32 v4, v83, v4
	v_fmac_f16_e32 v85, 0xb3a8, v0
	v_add_f16_e32 v0, v7, v2
	v_fma_f16 v2, v71, 0xbbc4, -v79
	v_add_f16_e64 v178, v180, v178
	v_add_f16_e64 v169, v195, v169
	;; [unrolled: 1-line block ×3, first 2 shown]
	v_lshl_add_u32 v5, v5, 2, v67
	v_pack_b32_f16 v3, v6, v3
	v_pack_b32_f16 v6, v38, v36
	v_add_f16_e64 v9, v181, v155
	v_add_f16_e64 v192, v194, v192
	;; [unrolled: 1-line block ×3, first 2 shown]
	v_pack_b32_f16 v7, v143, v133
	v_pack_b32_f16 v8, v141, v151
	v_add_f16_e32 v4, v85, v4
	v_add_f16_e32 v0, v2, v0
	ds_store_2addr_b32 v5, v3, v6 offset1:4
	ds_store_2addr_b32 v5, v7, v8 offset0:8 offset1:12
	v_pack_b32_f16 v2, v9, v157
	v_pack_b32_f16 v3, v169, v178
	;; [unrolled: 1-line block ×9, first 2 shown]
	ds_store_2addr_b32 v5, v2, v3 offset0:16 offset1:20
	ds_store_2addr_b32 v5, v6, v7 offset0:24 offset1:28
	;; [unrolled: 1-line block ×4, first 2 shown]
	ds_store_b32 v5, v0 offset:192
.LBB0_9:
	s_wait_alu 0xfffe
	s_or_b32 exec_lo, exec_lo, s0
	v_add_nc_u32_e32 v3, 0x600, v58
	v_add_nc_u32_e32 v2, 0x800, v58
	v_add_nc_u32_e32 v1, 0x400, v58
	global_wb scope:SCOPE_SE
	s_wait_dscnt 0x0
	s_barrier_signal -1
	s_barrier_wait -1
	global_inv scope:SCOPE_SE
	ds_load_2addr_b32 v[4:5], v58 offset1:78
	ds_load_2addr_b32 v[6:7], v3 offset0:84 offset1:162
	v_add_nc_u32_e32 v0, 0xc00, v58
	ds_load_2addr_b32 v[8:9], v58 offset0:156 offset1:234
	ds_load_2addr_b32 v[10:11], v2 offset0:112 offset1:190
	;; [unrolled: 1-line block ×4, first 2 shown]
	global_wb scope:SCOPE_SE
	s_wait_dscnt 0x0
	s_barrier_signal -1
	s_barrier_wait -1
	global_inv scope:SCOPE_SE
	s_mov_b32 s8, 0x11811812
	s_mov_b32 s9, 0x3f518118
	v_lshrrev_b32_e32 v33, 16, v4
	v_lshrrev_b32_e32 v37, 16, v6
	;; [unrolled: 1-line block ×4, first 2 shown]
	v_mul_f16_e32 v71, v108, v6
	v_lshrrev_b32_e32 v40, 16, v11
	v_mul_f16_e32 v76, v108, v37
	v_lshrrev_b32_e32 v68, 16, v31
	v_mul_f16_e32 v77, v111, v38
	v_fma_f16 v37, v90, v37, -v71
	v_mul_f16_e32 v71, v110, v39
	v_fmac_f16_e32 v76, v90, v6
	v_mul_f16_e32 v6, v109, v40
	v_lshrrev_b32_e32 v70, 16, v32
	v_mul_f16_e32 v74, v111, v7
	v_mul_f16_e32 v75, v110, v10
	v_fmac_f16_e32 v77, v93, v7
	v_mul_f16_e32 v7, v109, v11
	v_fmac_f16_e32 v71, v92, v10
	;; [unrolled: 2-line block ×3, first 2 shown]
	v_mul_f16_e32 v11, v107, v31
	v_fma_f16 v7, v91, v40, -v7
	v_mul_f16_e32 v40, v106, v32
	v_fmac_f16_e32 v10, v89, v31
	v_mul_f16_e32 v31, v106, v70
	v_lshrrev_b32_e32 v34, 16, v5
	v_fma_f16 v38, v93, v38, -v74
	v_sub_f16_e32 v74, v4, v76
	v_sub_f16_e32 v37, v33, v37
	v_lshrrev_b32_e32 v35, 16, v8
	v_fma_f16 v39, v92, v39, -v75
	v_lshrrev_b32_e32 v36, 16, v9
	v_lshrrev_b32_e32 v67, 16, v21
	v_fma_f16 v11, v89, v68, -v11
	v_lshrrev_b32_e32 v69, 16, v22
	v_fmac_f16_e32 v31, v88, v32
	v_fma_f16 v32, v88, v70, -v40
	v_fma_f16 v4, v4, 2.0, -v74
	v_sub_f16_e32 v40, v5, v77
	v_fma_f16 v33, v33, 2.0, -v37
	v_sub_f16_e32 v38, v34, v38
	v_sub_f16_e32 v68, v8, v71
	;; [unrolled: 1-line block ×9, first 2 shown]
	v_fma_f16 v5, v5, 2.0, -v40
	v_fma_f16 v34, v34, 2.0, -v38
	v_pack_b32_f16 v4, v4, v33
	v_pack_b32_f16 v33, v74, v37
	v_fma_f16 v8, v8, 2.0, -v68
	v_fma_f16 v35, v35, 2.0, -v39
	;; [unrolled: 1-line block ×8, first 2 shown]
	ds_store_2addr_b32 v95, v4, v33 offset1:52
	v_pack_b32_f16 v4, v5, v34
	v_pack_b32_f16 v5, v40, v38
	;; [unrolled: 1-line block ×10, first 2 shown]
	ds_store_2addr_b32 v97, v4, v5 offset1:52
	ds_store_2addr_b32 v98, v8, v33 offset1:52
	;; [unrolled: 1-line block ×5, first 2 shown]
	global_wb scope:SCOPE_SE
	s_wait_dscnt 0x0
	s_barrier_signal -1
	s_barrier_wait -1
	global_inv scope:SCOPE_SE
	ds_load_2addr_b32 v[4:5], v58 offset1:78
	ds_load_2addr_b32 v[6:7], v1 offset0:56 offset1:134
	ds_load_2addr_b32 v[8:9], v2 offset0:112 offset1:190
	;; [unrolled: 1-line block ×5, first 2 shown]
	global_wb scope:SCOPE_SE
	s_wait_dscnt 0x0
	s_barrier_signal -1
	s_barrier_wait -1
	global_inv scope:SCOPE_SE
	v_lshrrev_b32_e32 v33, 16, v4
	v_lshrrev_b32_e32 v34, 16, v6
	;; [unrolled: 1-line block ×4, first 2 shown]
	v_mul_f16_e32 v71, v119, v6
	v_lshrrev_b32_e32 v38, 16, v9
	v_mul_f16_e32 v69, v119, v34
	v_mul_f16_e32 v75, v118, v35
	v_lshrrev_b32_e32 v40, 16, v21
	v_lshrrev_b32_e32 v67, 16, v31
	;; [unrolled: 1-line block ×3, first 2 shown]
	v_fmac_f16_e32 v69, v19, v6
	v_mul_f16_e32 v6, v118, v8
	v_fma_f16 v19, v19, v34, -v71
	v_mul_f16_e32 v34, v117, v37
	v_fmac_f16_e32 v75, v20, v8
	v_mul_f16_e32 v8, v117, v7
	v_fma_f16 v6, v20, v35, -v6
	v_mul_f16_e32 v20, v116, v38
	;; [unrolled: 4-line block ×4, first 2 shown]
	v_lshrrev_b32_e32 v74, 16, v32
	v_fmac_f16_e32 v17, v15, v21
	v_mul_f16_e32 v21, v114, v31
	v_fma_f16 v9, v15, v40, -v9
	v_mul_f16_e32 v15, v113, v70
	v_fmac_f16_e32 v18, v16, v31
	v_mul_f16_e32 v31, v113, v22
	v_fma_f16 v16, v16, v67, -v21
	v_mul_f16_e32 v21, v112, v74
	v_fmac_f16_e32 v15, v13, v22
	v_mul_f16_e32 v22, v112, v32
	v_fma_f16 v13, v13, v70, -v31
	v_add_f16_e32 v31, v69, v75
	v_fmac_f16_e32 v21, v14, v32
	v_add_f16_e32 v32, v4, v69
	v_fma_f16 v14, v14, v74, -v22
	v_add_f16_e32 v22, v19, v6
	v_fma_f16 v4, -0.5, v31, v4
	v_sub_f16_e32 v31, v19, v6
	v_add_f16_e32 v19, v33, v19
	v_lshrrev_b32_e32 v36, 16, v5
	v_fmac_f16_e32 v33, -0.5, v22
	v_sub_f16_e32 v22, v69, v75
	v_fmamk_f16 v35, v31, 0xbaee, v4
	v_add_f16_e32 v6, v19, v6
	v_add_f16_e32 v19, v34, v20
	v_fmac_f16_e32 v4, 0x3aee, v31
	v_fmamk_f16 v31, v22, 0x3aee, v33
	v_add_f16_e32 v37, v5, v34
	v_fmac_f16_e32 v33, 0xbaee, v22
	v_add_f16_e32 v22, v8, v7
	v_fmac_f16_e32 v5, -0.5, v19
	v_sub_f16_e32 v19, v8, v7
	v_add_f16_e32 v8, v36, v8
	v_add_f16_e32 v37, v37, v20
	v_fmac_f16_e32 v36, -0.5, v22
	v_sub_f16_e32 v20, v34, v20
	v_lshrrev_b32_e32 v39, 16, v10
	v_add_f16_e32 v7, v8, v7
	v_add_f16_e32 v8, v17, v18
	v_fmamk_f16 v22, v19, 0xbaee, v5
	v_fmac_f16_e32 v5, 0x3aee, v19
	v_fmamk_f16 v19, v20, 0x3aee, v36
	v_fmac_f16_e32 v36, 0xbaee, v20
	v_add_f16_e32 v20, v9, v16
	v_add_f16_e32 v34, v10, v17
	v_fma_f16 v8, -0.5, v8, v10
	v_sub_f16_e32 v10, v9, v16
	v_add_f16_e32 v9, v39, v9
	v_fmac_f16_e32 v39, -0.5, v20
	v_sub_f16_e32 v17, v17, v18
	v_lshrrev_b32_e32 v68, 16, v11
	v_add_f16_e32 v34, v34, v18
	v_fmamk_f16 v18, v10, 0xbaee, v8
	v_fmac_f16_e32 v8, 0x3aee, v10
	v_add_f16_e32 v10, v15, v21
	v_add_f16_e32 v9, v9, v16
	v_fmamk_f16 v16, v17, 0x3aee, v39
	v_fmac_f16_e32 v39, 0xbaee, v17
	v_add_f16_e32 v17, v13, v14
	v_add_f16_e32 v32, v32, v75
	;; [unrolled: 1-line block ×3, first 2 shown]
	v_fmac_f16_e32 v11, -0.5, v10
	v_sub_f16_e32 v10, v13, v14
	v_add_f16_e32 v13, v68, v13
	v_fmac_f16_e32 v68, -0.5, v17
	v_sub_f16_e32 v15, v15, v21
	v_add_f16_e32 v17, v20, v21
	v_fmamk_f16 v20, v10, 0xbaee, v11
	v_fmac_f16_e32 v11, 0x3aee, v10
	v_add_f16_e32 v10, v13, v14
	v_pack_b32_f16 v6, v32, v6
	v_pack_b32_f16 v14, v35, v31
	;; [unrolled: 1-line block ×3, first 2 shown]
	v_fmamk_f16 v13, v15, 0x3aee, v68
	v_fmac_f16_e32 v68, 0xbaee, v15
	v_pack_b32_f16 v7, v37, v7
	v_pack_b32_f16 v15, v22, v19
	ds_store_2addr_b32 v58, v6, v14 offset1:104
	ds_store_b32 v58, v4 offset:832
	ds_store_2addr_b32 v104, v7, v15 offset1:104
	v_pack_b32_f16 v4, v5, v36
	v_pack_b32_f16 v5, v34, v9
	v_pack_b32_f16 v6, v18, v16
	v_pack_b32_f16 v7, v8, v39
	v_pack_b32_f16 v8, v17, v10
	v_pack_b32_f16 v9, v20, v13
	v_add_nc_u32_e32 v10, 0x800, v94
	v_pack_b32_f16 v11, v11, v68
	ds_store_b32 v104, v4 offset:832
	ds_store_2addr_b32 v103, v5, v6 offset1:104
	ds_store_b32 v103, v7 offset:832
	ds_store_2addr_b32 v10, v8, v9 offset0:112 offset1:216
	ds_store_b32 v94, v11 offset:3328
	global_wb scope:SCOPE_SE
	s_wait_dscnt 0x0
	s_barrier_signal -1
	s_barrier_wait -1
	global_inv scope:SCOPE_SE
	ds_load_2addr_b32 v[4:5], v58 offset1:78
	ds_load_2addr_b32 v[6:7], v1 offset0:56 offset1:134
	ds_load_2addr_b32 v[8:9], v2 offset0:112 offset1:190
	;; [unrolled: 1-line block ×5, first 2 shown]
	s_wait_dscnt 0x5
	v_lshrrev_b32_e32 v17, 16, v4
	s_wait_dscnt 0x4
	v_lshrrev_b32_e32 v18, 16, v6
	;; [unrolled: 2-line block ×3, first 2 shown]
	v_lshrrev_b32_e32 v21, 16, v7
	v_mul_f16_e32 v37, v127, v6
	v_lshrrev_b32_e32 v22, 16, v9
	v_mul_f16_e32 v35, v127, v18
	v_mul_f16_e32 v39, v126, v19
	s_wait_dscnt 0x1
	v_lshrrev_b32_e32 v32, 16, v13
	v_fma_f16 v18, v27, v18, -v37
	s_wait_dscnt 0x0
	v_lshrrev_b32_e32 v33, 16, v15
	v_fmac_f16_e32 v35, v27, v6
	v_mul_f16_e32 v6, v126, v8
	v_mul_f16_e32 v27, v125, v21
	v_fmac_f16_e32 v39, v28, v8
	v_mul_f16_e32 v8, v125, v7
	v_lshrrev_b32_e32 v36, 16, v14
	v_fma_f16 v6, v28, v19, -v6
	v_mul_f16_e32 v19, v124, v22
	v_fmac_f16_e32 v27, v29, v7
	v_mul_f16_e32 v7, v124, v9
	v_fma_f16 v8, v29, v21, -v8
	v_mul_f16_e32 v21, v123, v32
	v_fmac_f16_e32 v19, v30, v9
	v_mul_f16_e32 v9, v123, v13
	v_fma_f16 v7, v30, v22, -v7
	v_mul_f16_e32 v22, v122, v33
	v_lshrrev_b32_e32 v38, 16, v16
	v_fmac_f16_e32 v21, v25, v13
	v_mul_f16_e32 v13, v122, v15
	v_fma_f16 v9, v25, v32, -v9
	v_mul_f16_e32 v25, v121, v36
	v_fmac_f16_e32 v22, v26, v15
	v_mul_f16_e32 v15, v121, v14
	v_fma_f16 v13, v26, v33, -v13
	v_mul_f16_e32 v26, v120, v38
	v_fmac_f16_e32 v25, v23, v14
	v_mul_f16_e32 v14, v120, v16
	v_fma_f16 v15, v23, v36, -v15
	v_add_f16_e32 v23, v35, v39
	v_fmac_f16_e32 v26, v24, v16
	v_add_f16_e32 v16, v4, v35
	v_fma_f16 v14, v24, v38, -v14
	v_add_f16_e32 v24, v18, v6
	v_fma_f16 v4, -0.5, v23, v4
	v_sub_f16_e32 v23, v18, v6
	v_add_f16_e32 v18, v17, v18
	v_lshrrev_b32_e32 v20, 16, v5
	v_fmac_f16_e32 v17, -0.5, v24
	v_sub_f16_e32 v24, v35, v39
	v_fmamk_f16 v28, v23, 0xbaee, v4
	v_add_f16_e32 v6, v18, v6
	v_add_f16_e32 v18, v27, v19
	v_fmac_f16_e32 v4, 0x3aee, v23
	v_fmamk_f16 v23, v24, 0x3aee, v17
	v_add_f16_e32 v29, v5, v27
	v_fmac_f16_e32 v17, 0xbaee, v24
	v_add_f16_e32 v24, v8, v7
	v_fmac_f16_e32 v5, -0.5, v18
	v_sub_f16_e32 v18, v8, v7
	v_add_f16_e32 v8, v20, v8
	v_add_f16_e32 v29, v29, v19
	v_fmac_f16_e32 v20, -0.5, v24
	v_sub_f16_e32 v19, v27, v19
	v_lshrrev_b32_e32 v31, 16, v10
	v_add_f16_e32 v7, v8, v7
	v_add_f16_e32 v8, v21, v22
	v_fmamk_f16 v24, v18, 0xbaee, v5
	v_fmac_f16_e32 v5, 0x3aee, v18
	v_fmamk_f16 v18, v19, 0x3aee, v20
	v_fmac_f16_e32 v20, 0xbaee, v19
	v_add_f16_e32 v19, v9, v13
	v_add_f16_e32 v27, v10, v21
	v_fma_f16 v8, -0.5, v8, v10
	v_sub_f16_e32 v10, v9, v13
	v_add_f16_e32 v9, v31, v9
	v_fmac_f16_e32 v31, -0.5, v19
	v_sub_f16_e32 v19, v21, v22
	v_lshrrev_b32_e32 v34, 16, v11
	v_fmamk_f16 v21, v10, 0xbaee, v8
	v_fmac_f16_e32 v8, 0x3aee, v10
	v_add_f16_e32 v10, v25, v26
	v_add_f16_e32 v9, v9, v13
	v_fmamk_f16 v13, v19, 0x3aee, v31
	v_fmac_f16_e32 v31, 0xbaee, v19
	v_add_f16_e32 v19, v15, v14
	v_add_f16_e32 v16, v16, v39
	;; [unrolled: 1-line block ×4, first 2 shown]
	v_fmac_f16_e32 v11, -0.5, v10
	v_sub_f16_e32 v10, v15, v14
	v_add_f16_e32 v15, v34, v15
	v_fmac_f16_e32 v34, -0.5, v19
	v_sub_f16_e32 v19, v25, v26
	v_add_f16_e32 v22, v22, v26
	v_fmamk_f16 v25, v10, 0xbaee, v11
	v_fmac_f16_e32 v11, 0x3aee, v10
	v_add_f16_e32 v10, v15, v14
	v_pack_b32_f16 v6, v16, v6
	v_pack_b32_f16 v15, v28, v23
	;; [unrolled: 1-line block ×3, first 2 shown]
	v_fmamk_f16 v14, v19, 0x3aee, v34
	v_pack_b32_f16 v7, v29, v7
	v_fmac_f16_e32 v34, 0xbaee, v19
	v_pack_b32_f16 v16, v24, v18
	v_pack_b32_f16 v5, v5, v20
	ds_store_b32 v58, v6
	ds_store_b32 v58, v15 offset:1248
	ds_store_b32 v105, v4 offset:2496
	;; [unrolled: 1-line block ×5, first 2 shown]
	v_pack_b32_f16 v4, v27, v9
	v_pack_b32_f16 v5, v22, v10
	;; [unrolled: 1-line block ×6, first 2 shown]
	ds_store_2addr_b32 v58, v4, v5 offset0:156 offset1:234
	ds_store_b32 v73, v6 offset:1248
	ds_store_b32 v73, v7 offset:2496
	;; [unrolled: 1-line block ×4, first 2 shown]
	global_wb scope:SCOPE_SE
	s_wait_dscnt 0x0
	s_barrier_signal -1
	s_barrier_wait -1
	global_inv scope:SCOPE_SE
	ds_load_2addr_b32 v[4:5], v58 offset1:78
	s_wait_dscnt 0x0
	v_lshrrev_b32_e32 v8, 16, v4
	s_delay_alu instid0(VALU_DEP_1) | instskip(NEXT) | instid1(VALU_DEP_1)
	v_mul_f16_e32 v6, v66, v8
	v_fmac_f16_e32 v6, v63, v4
	v_mul_f16_e32 v4, v66, v4
	s_delay_alu instid0(VALU_DEP_2) | instskip(NEXT) | instid1(VALU_DEP_2)
	v_cvt_f32_f16_e32 v6, v6
	v_fma_f16 v4, v63, v8, -v4
	s_delay_alu instid0(VALU_DEP_2) | instskip(NEXT) | instid1(VALU_DEP_2)
	v_cvt_f64_f32_e32 v[6:7], v6
	v_cvt_f32_f16_e32 v4, v4
	s_delay_alu instid0(VALU_DEP_1) | instskip(SKIP_3) | instid1(VALU_DEP_1)
	v_cvt_f64_f32_e32 v[8:9], v4
	ds_load_2addr_b32 v[3:4], v3 offset0:84 offset1:162
	s_wait_dscnt 0x0
	v_lshrrev_b32_e32 v13, 16, v3
	v_mul_f16_e32 v11, v65, v13
	s_delay_alu instid0(VALU_DEP_1) | instskip(SKIP_4) | instid1(VALU_DEP_2)
	v_fmac_f16_e32 v11, v62, v3
	s_wait_alu 0xfffe
	v_mul_f64_e32 v[6:7], s[8:9], v[6:7]
	v_mul_f16_e32 v3, v65, v3
	v_mul_f64_e32 v[8:9], s[8:9], v[8:9]
	v_fma_f16 v3, v62, v13, -v3
	s_delay_alu instid0(VALU_DEP_1) | instskip(SKIP_3) | instid1(VALU_DEP_3)
	v_cvt_f32_f16_e32 v3, v3
	v_and_or_b32 v6, 0x1ff, v7, v6
	v_lshrrev_b32_e32 v10, 8, v7
	v_bfe_u32 v14, v7, 20, 11
	v_cmp_ne_u32_e32 vcc_lo, 0, v6
	v_and_or_b32 v8, 0x1ff, v9, v8
	s_delay_alu instid0(VALU_DEP_3)
	v_add_nc_u32_e32 v20, 0xfffffc10, v14
	v_lshrrev_b32_e32 v18, 8, v9
	v_bfe_u32 v19, v9, 20, 11
	s_wait_alu 0xfffd
	v_cndmask_b32_e64 v6, 0, 1, vcc_lo
	v_cmp_ne_u32_e32 vcc_lo, 0, v8
	v_lshrrev_b32_e32 v9, 16, v9
	s_delay_alu instid0(VALU_DEP_3)
	v_and_or_b32 v6, 0xffe, v10, v6
	v_sub_nc_u32_e32 v10, 0x3f1, v14
	s_wait_alu 0xfffd
	v_cndmask_b32_e64 v8, 0, 1, vcc_lo
	v_sub_nc_u32_e32 v14, 0x3f1, v19
	v_or_b32_e32 v15, 0x1000, v6
	v_med3_i32 v16, v10, 0, 13
	v_cvt_f32_f16_e32 v10, v11
	v_and_or_b32 v8, 0xffe, v18, v8
	s_delay_alu instid0(VALU_DEP_3) | instskip(NEXT) | instid1(VALU_DEP_3)
	v_lshrrev_b32_e32 v17, v16, v15
	v_cvt_f64_f32_e32 v[10:11], v10
	s_delay_alu instid0(VALU_DEP_2) | instskip(NEXT) | instid1(VALU_DEP_1)
	v_lshlrev_b32_e32 v16, v16, v17
	v_cmp_ne_u32_e32 vcc_lo, v16, v15
	v_or_b32_e32 v16, 0x1000, v8
	s_wait_alu 0xfffd
	v_cndmask_b32_e64 v15, 0, 1, vcc_lo
	v_cmp_gt_i32_e32 vcc_lo, 1, v20
	s_delay_alu instid0(VALU_DEP_2) | instskip(SKIP_3) | instid1(VALU_DEP_2)
	v_or_b32_e32 v13, v17, v15
	v_lshl_or_b32 v15, v20, 12, v6
	v_med3_i32 v17, v14, 0, 13
	s_wait_alu 0xfffd
	v_cndmask_b32_e32 v18, v15, v13, vcc_lo
	v_cvt_f64_f32_e32 v[13:14], v3
	s_delay_alu instid0(VALU_DEP_3) | instskip(NEXT) | instid1(VALU_DEP_3)
	v_lshrrev_b32_e32 v21, v17, v16
	v_and_b32_e32 v3, 7, v18
	s_delay_alu instid0(VALU_DEP_2) | instskip(SKIP_1) | instid1(VALU_DEP_3)
	v_lshlrev_b32_e32 v15, v17, v21
	v_lshrrev_b32_e32 v17, 2, v18
	v_cmp_lt_i32_e32 vcc_lo, 5, v3
	v_cmp_eq_u32_e64 s0, 3, v3
	s_delay_alu instid0(VALU_DEP_4) | instskip(SKIP_2) | instid1(VALU_DEP_4)
	v_cmp_ne_u32_e64 s1, v15, v16
	v_mul_f64_e32 v[10:11], s[8:9], v[10:11]
	v_mad_co_u64_u32 v[15:16], null, s6, v12, 0
	s_or_b32 vcc_lo, s0, vcc_lo
	s_delay_alu instid0(VALU_DEP_3) | instskip(SKIP_3) | instid1(VALU_DEP_3)
	v_cndmask_b32_e64 v3, 0, 1, s1
	s_wait_alu 0xfffe
	v_add_co_ci_u32_e32 v17, vcc_lo, 0, v17, vcc_lo
	v_cmp_ne_u32_e32 vcc_lo, 0, v6
	v_or_b32_e32 v3, v21, v3
	s_wait_alu 0xfffd
	v_cndmask_b32_e64 v6, 0, 1, vcc_lo
	s_delay_alu instid0(VALU_DEP_1) | instskip(SKIP_1) | instid1(VALU_DEP_1)
	v_lshl_or_b32 v6, v6, 9, 0x7c00
	v_add_nc_u32_e32 v19, 0xfffffc10, v19
	v_lshl_or_b32 v18, v19, 12, v8
	v_cmp_gt_i32_e32 vcc_lo, 1, v19
	s_wait_alu 0xfffd
	s_delay_alu instid0(VALU_DEP_2) | instskip(SKIP_1) | instid1(VALU_DEP_2)
	v_cndmask_b32_e32 v18, v18, v3, vcc_lo
	v_cmp_gt_i32_e32 vcc_lo, 31, v20
	v_dual_mov_b32 v3, v16 :: v_dual_and_b32 v22, 7, v18
	s_wait_alu 0xfffd
	v_cndmask_b32_e32 v21, 0x7c00, v17, vcc_lo
	v_cmp_eq_u32_e32 vcc_lo, 0x40f, v20
	s_delay_alu instid0(VALU_DEP_3)
	v_mad_co_u64_u32 v[16:17], null, s7, v12, v[3:4]
	v_cmp_eq_u32_e64 s0, 3, v22
	v_mul_f64_e32 v[12:13], s[8:9], v[13:14]
	s_wait_alu 0xfffd
	v_cndmask_b32_e32 v20, v21, v6, vcc_lo
	v_cmp_lt_i32_e32 vcc_lo, 5, v22
	v_lshrrev_b32_e32 v14, 16, v5
	v_lshrrev_b32_e32 v3, 2, v18
	;; [unrolled: 1-line block ×4, first 2 shown]
	s_or_b32 vcc_lo, s0, vcc_lo
	v_mul_f16_e32 v17, v64, v14
	s_wait_alu 0xfffe
	v_add_co_ci_u32_e32 v3, vcc_lo, 0, v3, vcc_lo
	v_cmp_ne_u32_e32 vcc_lo, 0, v8
	v_and_or_b32 v8, 0x1ff, v11, v10
	v_fmac_f16_e32 v17, v60, v5
	v_bfe_u32 v23, v11, 20, 11
	v_mul_f16_e32 v5, v64, v5
	s_wait_alu 0xfffd
	v_cndmask_b32_e64 v6, 0, 1, vcc_lo
	v_cmp_gt_i32_e32 vcc_lo, 31, v19
	v_cvt_f32_f16_e32 v17, v17
	v_lshrrev_b32_e32 v11, 16, v11
	v_fma_f16 v5, v60, v14, -v5
	v_lshl_or_b32 v10, v6, 9, 0x7c00
	s_wait_alu 0xfffd
	v_cndmask_b32_e32 v3, 0x7c00, v3, vcc_lo
	v_cmp_ne_u32_e32 vcc_lo, 0, v8
	v_mad_co_u64_u32 v[6:7], null, s4, v57, 0
	v_cvt_f64_f32_e32 v[17:18], v17
	v_cvt_f32_f16_e32 v5, v5
	s_wait_alu 0xfffd
	v_cndmask_b32_e64 v8, 0, 1, vcc_lo
	v_cmp_eq_u32_e32 vcc_lo, 0x40f, v19
	s_delay_alu instid0(VALU_DEP_2)
	v_and_or_b32 v19, 0xffe, v22, v8
	s_wait_alu 0xfffd
	v_cndmask_b32_e32 v10, v3, v10, vcc_lo
	v_mov_b32_e32 v3, v7
	v_sub_nc_u32_e32 v22, 0x3f1, v23
	v_and_or_b32 v12, 0x1ff, v13, v12
	s_delay_alu instid0(VALU_DEP_3)
	v_mad_co_u64_u32 v[7:8], null, s5, v57, v[3:4]
	v_and_or_b32 v3, 0x8000, v21, v20
	v_or_b32_e32 v20, 0x1000, v19
	v_med3_i32 v21, v22, 0, 13
	v_and_or_b32 v8, 0x8000, v9, v10
	v_cmp_ne_u32_e32 vcc_lo, 0, v12
	v_and_b32_e32 v3, 0xffff, v3
	v_add_nc_u32_e32 v22, 0xfffffc10, v23
	v_lshrrev_b32_e32 v10, v21, v20
	s_wait_alu 0xfffd
	v_cndmask_b32_e64 v12, 0, 1, vcc_lo
	v_lshl_or_b32 v3, v8, 16, v3
	v_lshlrev_b64_e32 v[8:9], 2, v[15:16]
	v_lshlrev_b32_e32 v14, v21, v10
	v_lshrrev_b32_e32 v16, 8, v13
	v_bfe_u32 v21, v13, 20, 11
	v_lshrrev_b32_e32 v13, 16, v13
	s_delay_alu instid0(VALU_DEP_4)
	v_cmp_ne_u32_e32 vcc_lo, v14, v20
	v_cvt_f64_f32_e32 v[14:15], v5
	v_and_or_b32 v12, 0xffe, v16, v12
	v_sub_nc_u32_e32 v16, 0x3f1, v21
	v_lshlrev_b64_e32 v[5:6], 2, v[6:7]
	s_wait_alu 0xfffd
	v_cndmask_b32_e64 v20, 0, 1, vcc_lo
	v_add_co_u32 v8, vcc_lo, s2, v8
	v_med3_i32 v23, v16, 0, 13
	v_mul_f64_e32 v[16:17], s[8:9], v[17:18]
	s_wait_alu 0xfffd
	v_add_co_ci_u32_e32 v9, vcc_lo, s3, v9, vcc_lo
	v_or_b32_e32 v7, v10, v20
	v_lshl_or_b32 v10, v22, 12, v19
	v_or_b32_e32 v20, 0x1000, v12
	v_cmp_gt_i32_e32 vcc_lo, 1, v22
	v_add_nc_u32_e32 v18, 0xfffffc10, v21
	s_mul_u64 s[2:3], s[4:5], 0x750
	s_wait_alu 0xfffd
	v_cndmask_b32_e32 v7, v10, v7, vcc_lo
	v_lshrrev_b32_e32 v10, v23, v20
	v_add_co_u32 v5, vcc_lo, v8, v5
	s_wait_alu 0xfffd
	v_add_co_ci_u32_e32 v6, vcc_lo, v9, v6, vcc_lo
	s_delay_alu instid0(VALU_DEP_3)
	v_lshlrev_b32_e32 v9, v23, v10
	v_and_b32_e32 v8, 7, v7
	global_store_b32 v[5:6], v3, off
	v_lshrrev_b32_e32 v3, 2, v7
	v_cmp_ne_u32_e64 s1, v9, v20
	v_cmp_lt_i32_e32 vcc_lo, 5, v8
	v_cmp_eq_u32_e64 s0, 3, v8
	v_lshrrev_b32_e32 v20, 16, v4
	s_wait_alu 0xf1ff
	v_cndmask_b32_e64 v7, 0, 1, s1
	s_delay_alu instid0(VALU_DEP_3) | instskip(SKIP_2) | instid1(VALU_DEP_2)
	s_or_b32 vcc_lo, s0, vcc_lo
	s_wait_alu 0xfffe
	v_add_co_ci_u32_e32 v3, vcc_lo, 0, v3, vcc_lo
	v_or_b32_e32 v9, v10, v7
	v_mul_f64_e32 v[7:8], s[8:9], v[14:15]
	v_mul_f16_e32 v14, v61, v20
	v_cmp_ne_u32_e32 vcc_lo, 0, v19
	v_lshl_or_b32 v10, v18, 12, v12
	v_bfe_u32 v21, v17, 20, 11
	s_delay_alu instid0(VALU_DEP_4)
	v_fmac_f16_e32 v14, v56, v4
	s_wait_alu 0xfffd
	v_cndmask_b32_e64 v15, 0, 1, vcc_lo
	v_cmp_gt_i32_e32 vcc_lo, 1, v18
	v_mul_f16_e32 v4, v61, v4
	s_wait_alu 0xfffd
	v_cndmask_b32_e32 v19, v10, v9, vcc_lo
	v_cmp_gt_i32_e32 vcc_lo, 31, v22
	v_cvt_f32_f16_e32 v10, v14
	v_and_or_b32 v14, 0x1ff, v17, v16
	v_lshl_or_b32 v9, v15, 9, 0x7c00
	v_and_b32_e32 v15, 7, v19
	s_wait_alu 0xfffd
	v_cndmask_b32_e32 v3, 0x7c00, v3, vcc_lo
	v_cmp_eq_u32_e32 vcc_lo, 0x40f, v22
	v_cmp_ne_u32_e64 s0, 0, v14
	v_lshrrev_b32_e32 v16, 8, v17
	v_fma_f16 v4, v56, v20, -v4
	v_add_nc_u32_e32 v20, 0xfffffc10, v21
	s_wait_alu 0xfffd
	v_cndmask_b32_e32 v3, v3, v9, vcc_lo
	v_cmp_lt_i32_e32 vcc_lo, 5, v15
	v_cvt_f64_f32_e32 v[9:10], v10
	s_wait_alu 0xf1ff
	v_cndmask_b32_e64 v14, 0, 1, s0
	v_cmp_eq_u32_e64 s0, 3, v15
	v_lshrrev_b32_e32 v15, 2, v19
	v_and_or_b32 v11, 0x8000, v11, v3
	v_cvt_f32_f16_e32 v4, v4
	v_and_or_b32 v14, 0xffe, v16, v14
	s_or_b32 vcc_lo, s0, vcc_lo
	v_sub_nc_u32_e32 v16, 0x3f1, v21
	s_wait_alu 0xfffe
	v_add_co_ci_u32_e32 v15, vcc_lo, 0, v15, vcc_lo
	v_cmp_ne_u32_e32 vcc_lo, 0, v12
	v_or_b32_e32 v19, 0x1000, v14
	v_med3_i32 v16, v16, 0, 13
	v_and_or_b32 v7, 0x1ff, v8, v7
	v_and_b32_e32 v22, 0xffff, v11
	s_wait_alu 0xfffd
	v_cndmask_b32_e64 v12, 0, 1, vcc_lo
	v_cmp_gt_i32_e32 vcc_lo, 31, v18
	v_lshrrev_b32_e32 v17, 16, v17
	s_delay_alu instid0(VALU_DEP_3)
	v_lshl_or_b32 v12, v12, 9, 0x7c00
	s_wait_alu 0xfffd
	v_cndmask_b32_e32 v3, 0x7c00, v15, vcc_lo
	v_lshrrev_b32_e32 v15, v16, v19
	v_cmp_eq_u32_e32 vcc_lo, 0x40f, v18
	v_bfe_u32 v18, v8, 20, 11
	s_wait_alu 0xfffd
	s_delay_alu instid0(VALU_DEP_3) | instskip(SKIP_2) | instid1(VALU_DEP_3)
	v_dual_cndmask_b32 v12, v3, v12 :: v_dual_lshlrev_b32 v3, v16, v15
	v_cmp_ne_u32_e32 vcc_lo, 0, v7
	v_lshrrev_b32_e32 v16, 8, v8
	v_and_or_b32 v13, 0x8000, v13, v12
	ds_load_2addr_b32 v[11:12], v58 offset0:156 offset1:234
	s_wait_alu 0xfffd
	v_cndmask_b32_e64 v7, 0, 1, vcc_lo
	v_cmp_ne_u32_e32 vcc_lo, v3, v19
	v_cvt_f64_f32_e32 v[3:4], v4
	v_mul_f64_e32 v[9:10], s[8:9], v[9:10]
	v_lshl_or_b32 v22, v13, 16, v22
	v_and_or_b32 v7, 0xffe, v16, v7
	s_wait_alu 0xfffd
	v_cndmask_b32_e64 v19, 0, 1, vcc_lo
	v_sub_nc_u32_e32 v16, 0x3f1, v18
	v_cmp_gt_i32_e32 vcc_lo, 1, v20
	v_or_b32_e32 v21, 0x1000, v7
	s_delay_alu instid0(VALU_DEP_4) | instskip(SKIP_3) | instid1(VALU_DEP_2)
	v_or_b32_e32 v15, v15, v19
	v_lshl_or_b32 v19, v20, 12, v14
	v_med3_i32 v16, v16, 0, 13
	s_wait_alu 0xfffd
	v_cndmask_b32_e32 v15, v19, v15, vcc_lo
	s_delay_alu instid0(VALU_DEP_2)
	v_lshrrev_b32_e32 v19, v16, v21
	v_add_co_u32 v5, vcc_lo, v5, s2
	s_wait_alu 0xfffd
	v_add_co_ci_u32_e32 v6, vcc_lo, s3, v6, vcc_lo
	v_and_b32_e32 v13, 7, v15
	v_lshlrev_b32_e32 v16, v16, v19
	global_store_b32 v[5:6], v22, off
	v_cmp_lt_i32_e32 vcc_lo, 5, v13
	v_cmp_eq_u32_e64 s0, 3, v13
	v_lshrrev_b32_e32 v13, 2, v15
	v_cmp_ne_u32_e64 s1, v16, v21
	v_add_nc_u32_e32 v16, 0xfffffc10, v18
	s_delay_alu instid0(VALU_DEP_4)
	s_or_b32 vcc_lo, s0, vcc_lo
	s_wait_alu 0xfffe
	v_add_co_ci_u32_e32 v13, vcc_lo, 0, v13, vcc_lo
	v_cndmask_b32_e64 v15, 0, 1, s1
	v_cmp_ne_u32_e32 vcc_lo, 0, v14
	v_lshl_or_b32 v18, v16, 12, v7
	v_mul_f64_e32 v[3:4], s[8:9], v[3:4]
	v_and_or_b32 v9, 0x1ff, v10, v9
	v_or_b32_e32 v15, v19, v15
	s_wait_dscnt 0x0
	v_lshrrev_b32_e32 v19, 16, v11
	s_wait_alu 0xfffd
	v_cndmask_b32_e64 v14, 0, 1, vcc_lo
	v_cmp_gt_i32_e32 vcc_lo, 1, v16
	v_bfe_u32 v24, v10, 20, 11
	s_delay_alu instid0(VALU_DEP_3)
	v_lshl_or_b32 v23, v14, 9, 0x7c00
	s_wait_alu 0xfffd
	v_cndmask_b32_e32 v15, v18, v15, vcc_lo
	v_mul_f16_e32 v18, v59, v19
	v_cmp_gt_i32_e32 vcc_lo, 31, v20
	v_cmp_eq_u32_e64 s1, 0x40f, v20
	s_delay_alu instid0(VALU_DEP_3)
	v_fmac_f16_e32 v18, v54, v11
	s_wait_alu 0xfffd
	v_cndmask_b32_e32 v21, 0x7c00, v13, vcc_lo
	v_and_b32_e32 v13, 7, v15
	v_cmp_ne_u32_e32 vcc_lo, 0, v9
	v_lshrrev_b32_e32 v15, 2, v15
	v_cvt_f32_f16_e32 v14, v18
	v_lshrrev_b32_e32 v18, 8, v10
	v_cmp_eq_u32_e64 s0, 3, v13
	s_wait_alu 0xfffd
	v_cndmask_b32_e64 v9, 0, 1, vcc_lo
	v_cmp_lt_i32_e32 vcc_lo, 5, v13
	v_cvt_f64_f32_e32 v[13:14], v14
	s_wait_alu 0xf1ff
	v_cndmask_b32_e64 v20, v21, v23, s1
	v_lshrrev_b32_e32 v10, 16, v10
	v_and_or_b32 v9, 0xffe, v18, v9
	s_or_b32 vcc_lo, s0, vcc_lo
	v_sub_nc_u32_e32 v18, 0x3f1, v24
	s_wait_alu 0xfffe
	v_add_co_ci_u32_e32 v15, vcc_lo, 0, v15, vcc_lo
	v_cmp_ne_u32_e32 vcc_lo, 0, v7
	v_or_b32_e32 v21, 0x1000, v9
	v_med3_i32 v18, v18, 0, 13
	v_and_or_b32 v17, 0x8000, v17, v20
	v_and_or_b32 v3, 0x1ff, v4, v3
	s_wait_alu 0xfffd
	v_cndmask_b32_e64 v7, 0, 1, vcc_lo
	v_cmp_gt_i32_e32 vcc_lo, 31, v16
	v_lshrrev_b32_e32 v23, v18, v21
	s_movk_i32 s0, 0xf9e8
	s_mov_b32 s1, -1
	v_lshl_or_b32 v7, v7, 9, 0x7c00
	s_wait_alu 0xfffd
	v_cndmask_b32_e32 v15, 0x7c00, v15, vcc_lo
	v_cmp_eq_u32_e32 vcc_lo, 0x40f, v16
	v_lshlrev_b32_e32 v18, v18, v23
	v_lshrrev_b32_e32 v16, 8, v4
	s_wait_alu 0xfffe
	s_mul_u64 s[4:5], s[4:5], s[0:1]
	s_wait_alu 0xfffd
	v_cndmask_b32_e32 v15, v15, v7, vcc_lo
	v_mul_f16_e32 v7, v59, v11
	v_cmp_ne_u32_e32 vcc_lo, v18, v21
	v_lshrrev_b32_e32 v11, 16, v8
	v_bfe_u32 v18, v4, 20, 11
	v_add_nc_u32_e32 v21, 0xfffffc10, v24
	v_fma_f16 v7, v54, v19, -v7
	s_wait_alu 0xfffd
	v_cndmask_b32_e64 v8, 0, 1, vcc_lo
	v_cmp_ne_u32_e32 vcc_lo, 0, v3
	v_and_or_b32 v11, 0x8000, v11, v15
	v_and_b32_e32 v15, 0xffff, v17
	v_cvt_f32_f16_e32 v20, v7
	v_or_b32_e32 v19, v23, v8
	s_wait_alu 0xfffd
	v_cndmask_b32_e64 v3, 0, 1, vcc_lo
	v_mul_f64_e32 v[7:8], s[8:9], v[13:14]
	v_cmp_gt_i32_e32 vcc_lo, 1, v21
	v_cvt_f64_f32_e32 v[13:14], v20
	v_lshl_or_b32 v11, v11, 16, v15
	v_and_or_b32 v22, 0xffe, v16, v3
	v_sub_nc_u32_e32 v3, 0x3f1, v18
	v_lshl_or_b32 v16, v21, 12, v9
	v_add_nc_u32_e32 v18, 0xfffffc10, v18
	v_lshrrev_b32_e32 v4, 16, v4
	v_or_b32_e32 v20, 0x1000, v22
	v_med3_i32 v23, v3, 0, 13
	ds_load_2addr_b32 v[2:3], v2 offset0:112 offset1:190
	s_wait_alu 0xfffd
	v_cndmask_b32_e32 v16, v16, v19, vcc_lo
	s_wait_alu 0xfffe
	v_add_co_u32 v5, vcc_lo, v5, s4
	v_lshrrev_b32_e32 v17, v23, v20
	s_wait_alu 0xfffd
	v_add_co_ci_u32_e32 v6, vcc_lo, s5, v6, vcc_lo
	v_and_b32_e32 v15, 7, v16
	s_delay_alu instid0(VALU_DEP_3)
	v_lshlrev_b32_e32 v19, v23, v17
	global_store_b32 v[5:6], v11, off
	v_cmp_lt_i32_e32 vcc_lo, 5, v15
	v_cmp_eq_u32_e64 s0, 3, v15
	v_lshrrev_b32_e32 v15, 2, v16
	v_cmp_ne_u32_e64 s1, v19, v20
	s_delay_alu instid0(VALU_DEP_3) | instskip(SKIP_1) | instid1(VALU_DEP_2)
	s_or_b32 vcc_lo, s0, vcc_lo
	s_wait_alu 0xfffe
	v_add_co_ci_u32_e32 v15, vcc_lo, 0, v15, vcc_lo
	s_delay_alu instid0(VALU_DEP_2)
	v_cndmask_b32_e64 v16, 0, 1, s1
	s_wait_dscnt 0x0
	v_lshrrev_b32_e32 v19, 16, v2
	v_cmp_ne_u32_e32 vcc_lo, 0, v9
	v_cmp_eq_u32_e64 s1, 0x40f, v21
	v_or_b32_e32 v16, v17, v16
	v_lshl_or_b32 v17, v18, 12, v22
	s_wait_alu 0xfffd
	v_cndmask_b32_e64 v9, 0, 1, vcc_lo
	v_mul_f16_e32 v20, v55, v19
	v_cmp_gt_i32_e32 vcc_lo, 1, v18
	v_mul_f64_e32 v[13:14], s[8:9], v[13:14]
	v_and_or_b32 v7, 0x1ff, v8, v7
	v_bfe_u32 v25, v8, 20, 11
	v_fmac_f16_e32 v20, v52, v2
	s_wait_alu 0xfffd
	v_cndmask_b32_e32 v17, v17, v16, vcc_lo
	v_cmp_gt_i32_e32 vcc_lo, 31, v21
	v_lshl_or_b32 v9, v9, 9, 0x7c00
	v_mul_f16_e32 v2, v55, v2
	s_wait_alu 0xfffd
	v_dual_cndmask_b32 v23, 0x7c00, v15 :: v_dual_and_b32 v24, 7, v17
	v_cvt_f32_f16_e32 v15, v20
	v_cmp_ne_u32_e32 vcc_lo, 0, v7
	v_lshrrev_b32_e32 v20, 8, v8
	s_delay_alu instid0(VALU_DEP_4)
	v_cmp_eq_u32_e64 s0, 3, v24
	v_lshrrev_b32_e32 v17, 2, v17
	v_cvt_f64_f32_e32 v[15:16], v15
	s_wait_alu 0xfffd
	v_cndmask_b32_e64 v7, 0, 1, vcc_lo
	v_cmp_lt_i32_e32 vcc_lo, 5, v24
	s_wait_alu 0xf1ff
	v_cndmask_b32_e64 v9, v23, v9, s1
	v_fma_f16 v2, v52, v19, -v2
	v_and_or_b32 v7, 0xffe, v20, v7
	v_sub_nc_u32_e32 v20, 0x3f1, v25
	s_or_b32 vcc_lo, s0, vcc_lo
	v_and_or_b32 v24, 0x8000, v10, v9
	s_wait_alu 0xfffe
	v_add_co_ci_u32_e32 v17, vcc_lo, 0, v17, vcc_lo
	v_or_b32_e32 v21, 0x1000, v7
	v_med3_i32 v20, v20, 0, 13
	v_cmp_ne_u32_e32 vcc_lo, 0, v22
	v_cvt_f32_f16_e32 v2, v2
	s_delay_alu instid0(VALU_DEP_3)
	v_lshrrev_b32_e32 v23, v20, v21
	s_wait_alu 0xfffd
	v_cndmask_b32_e64 v22, 0, 1, vcc_lo
	v_cmp_gt_i32_e32 vcc_lo, 31, v18
	v_and_or_b32 v10, 0x1ff, v14, v13
	v_lshlrev_b32_e32 v20, v20, v23
	s_delay_alu instid0(VALU_DEP_4) | instskip(SKIP_4) | instid1(VALU_DEP_2)
	v_lshl_or_b32 v22, v22, 9, 0x7c00
	s_wait_alu 0xfffd
	v_cndmask_b32_e32 v17, 0x7c00, v17, vcc_lo
	v_cmp_eq_u32_e32 vcc_lo, 0x40f, v18
	s_wait_alu 0xfffd
	v_dual_cndmask_b32 v17, v17, v22 :: v_dual_add_nc_u32 v18, 0xfffffc10, v25
	v_cmp_ne_u32_e32 vcc_lo, v20, v21
	s_delay_alu instid0(VALU_DEP_2)
	v_lshl_or_b32 v19, v18, 12, v7
	v_lshrrev_b32_e32 v21, 8, v14
	v_bfe_u32 v22, v14, 20, 11
	v_and_or_b32 v4, 0x8000, v4, v17
	s_wait_alu 0xfffd
	v_cndmask_b32_e64 v9, 0, 1, vcc_lo
	v_cmp_ne_u32_e32 vcc_lo, 0, v10
	v_lshrrev_b32_e32 v14, 16, v14
	v_sub_nc_u32_e32 v17, 0x3f1, v22
	s_delay_alu instid0(VALU_DEP_4)
	v_or_b32_e32 v13, v23, v9
	s_wait_alu 0xfffd
	v_cndmask_b32_e64 v20, 0, 1, vcc_lo
	v_mul_f64_e32 v[9:10], s[8:9], v[15:16]
	v_cmp_gt_i32_e32 vcc_lo, 1, v18
	v_cvt_f64_f32_e32 v[15:16], v2
	v_med3_i32 v17, v17, 0, 13
	s_wait_alu 0xfffd
	v_cndmask_b32_e32 v2, v19, v13, vcc_lo
	v_and_or_b32 v13, 0xffe, v21, v20
	v_and_b32_e32 v19, 0xffff, v24
	s_delay_alu instid0(VALU_DEP_3) | instskip(NEXT) | instid1(VALU_DEP_3)
	v_and_b32_e32 v20, 7, v2
	v_or_b32_e32 v11, 0x1000, v13
	v_lshrrev_b32_e32 v2, 2, v2
	s_delay_alu instid0(VALU_DEP_4)
	v_lshl_or_b32 v19, v4, 16, v19
	v_add_co_u32 v4, s1, v5, s2
	v_cmp_lt_i32_e32 vcc_lo, 5, v20
	v_cmp_eq_u32_e64 s0, 3, v20
	v_lshrrev_b32_e32 v20, v17, v11
	s_wait_alu 0xf1ff
	v_add_co_ci_u32_e64 v5, s1, s3, v6, s1
	s_delay_alu instid0(VALU_DEP_3) | instskip(NEXT) | instid1(VALU_DEP_2)
	s_or_b32 vcc_lo, s0, vcc_lo
	v_lshlrev_b32_e32 v6, v17, v20
	s_wait_alu 0xfffe
	v_add_co_ci_u32_e32 v2, vcc_lo, 0, v2, vcc_lo
	v_cmp_gt_i32_e32 vcc_lo, 31, v18
	v_lshrrev_b32_e32 v17, 16, v12
	global_store_b32 v[4:5], v19, off
	s_wait_alu 0xfffd
	v_cndmask_b32_e32 v2, 0x7c00, v2, vcc_lo
	v_cmp_ne_u32_e32 vcc_lo, v6, v11
	v_add_nc_u32_e32 v11, 0xfffffc10, v22
	v_mul_f16_e32 v19, v53, v17
	s_wait_alu 0xfffd
	v_cndmask_b32_e64 v6, 0, 1, vcc_lo
	v_cmp_ne_u32_e32 vcc_lo, 0, v7
	v_lshl_or_b32 v22, v11, 12, v13
	v_and_or_b32 v9, 0x1ff, v10, v9
	v_fmac_f16_e32 v19, v50, v12
	v_or_b32_e32 v20, v20, v6
	s_wait_alu 0xfffd
	v_cndmask_b32_e64 v21, 0, 1, vcc_lo
	v_cmp_gt_i32_e32 vcc_lo, 1, v11
	v_mul_f64_e32 v[6:7], s[8:9], v[15:16]
	v_cvt_f32_f16_e32 v15, v19
	v_lshrrev_b32_e32 v19, 8, v10
	v_lshl_or_b32 v21, v21, 9, 0x7c00
	s_wait_alu 0xfffd
	v_cndmask_b32_e32 v20, v22, v20, vcc_lo
	v_cmp_ne_u32_e32 vcc_lo, 0, v9
	v_bfe_u32 v22, v10, 20, 11
	v_mul_f16_e32 v12, v53, v12
	v_cvt_f64_f32_e32 v[15:16], v15
	v_and_b32_e32 v23, 7, v20
	s_wait_alu 0xfffd
	v_cndmask_b32_e64 v9, 0, 1, vcc_lo
	v_cmp_eq_u32_e32 vcc_lo, 0x40f, v18
	v_fma_f16 v12, v50, v17, -v12
	v_lshrrev_b32_e32 v17, 16, v8
	v_cmp_eq_u32_e64 s0, 3, v23
	v_and_or_b32 v19, 0xffe, v19, v9
	v_sub_nc_u32_e32 v9, 0x3f1, v22
	s_wait_alu 0xfffd
	v_cndmask_b32_e32 v2, v2, v21, vcc_lo
	v_cmp_lt_i32_e32 vcc_lo, 5, v23
	v_lshrrev_b32_e32 v8, 2, v20
	v_or_b32_e32 v18, 0x1000, v19
	v_med3_i32 v9, v9, 0, 13
	v_cvt_f32_f16_e32 v12, v12
	s_or_b32 vcc_lo, s0, vcc_lo
	v_and_or_b32 v2, 0x8000, v17, v2
	s_wait_alu 0xfffe
	v_add_co_ci_u32_e32 v21, vcc_lo, 0, v8, vcc_lo
	v_lshrrev_b32_e32 v20, v9, v18
	v_cmp_ne_u32_e32 vcc_lo, 0, v13
	v_and_b32_e32 v2, 0xffff, v2
	s_delay_alu instid0(VALU_DEP_3) | instskip(SKIP_4) | instid1(VALU_DEP_3)
	v_lshlrev_b32_e32 v23, v9, v20
	s_wait_alu 0xfffd
	v_cndmask_b32_e64 v13, 0, 1, vcc_lo
	v_cmp_gt_i32_e32 vcc_lo, 31, v11
	v_cvt_f64_f32_e32 v[8:9], v12
	v_lshl_or_b32 v13, v13, 9, 0x7c00
	s_wait_alu 0xfffd
	v_cndmask_b32_e32 v12, 0x7c00, v21, vcc_lo
	v_cmp_ne_u32_e32 vcc_lo, v23, v18
	v_and_or_b32 v6, 0x1ff, v7, v6
	v_add_nc_u32_e32 v21, 0xfffffc10, v22
	v_bfe_u32 v23, v7, 20, 11
	v_lshrrev_b32_e32 v22, 8, v7
	s_wait_alu 0xfffd
	v_cndmask_b32_e64 v18, 0, 1, vcc_lo
	v_cmp_eq_u32_e32 vcc_lo, 0x40f, v11
	s_delay_alu instid0(VALU_DEP_2)
	v_or_b32_e32 v18, v20, v18
	s_wait_alu 0xfffd
	v_cndmask_b32_e32 v13, v12, v13, vcc_lo
	v_cmp_ne_u32_e32 vcc_lo, 0, v6
	v_lshl_or_b32 v20, v21, 12, v19
	v_mul_f64_e32 v[11:12], s[8:9], v[15:16]
	v_sub_nc_u32_e32 v16, 0x3f1, v23
	v_and_or_b32 v13, 0x8000, v14, v13
	s_wait_alu 0xfffd
	v_cndmask_b32_e64 v6, 0, 1, vcc_lo
	v_cmp_gt_i32_e32 vcc_lo, 1, v21
	v_med3_i32 v16, v16, 0, 13
	s_delay_alu instid0(VALU_DEP_3) | instskip(SKIP_2) | instid1(VALU_DEP_2)
	v_and_or_b32 v6, 0xffe, v22, v6
	s_wait_alu 0xfffd
	v_cndmask_b32_e32 v15, v20, v18, vcc_lo
	v_or_b32_e32 v14, 0x1000, v6
	s_delay_alu instid0(VALU_DEP_2) | instskip(NEXT) | instid1(VALU_DEP_1)
	v_and_b32_e32 v17, 7, v15
	v_cmp_lt_i32_e32 vcc_lo, 5, v17
	v_cmp_eq_u32_e64 s0, 3, v17
	v_lshl_or_b32 v17, v13, 16, v2
	v_lshrrev_b32_e32 v2, 2, v15
	v_lshrrev_b32_e32 v13, v16, v14
	v_lshrrev_b32_e32 v15, 16, v3
	s_or_b32 vcc_lo, s0, vcc_lo
	v_mul_f64_e32 v[8:9], s[8:9], v[8:9]
	s_wait_alu 0xfffe
	v_add_co_ci_u32_e32 v2, vcc_lo, 0, v2, vcc_lo
	v_add_co_u32 v4, vcc_lo, v4, s4
	s_wait_alu 0xfffd
	v_add_co_ci_u32_e32 v5, vcc_lo, s5, v5, vcc_lo
	v_lshlrev_b32_e32 v16, v16, v13
	v_cmp_gt_i32_e32 vcc_lo, 31, v21
	v_mul_f16_e32 v18, v51, v15
	global_store_b32 v[4:5], v17, off
	v_and_or_b32 v11, 0x1ff, v12, v11
	s_wait_alu 0xfffd
	v_cndmask_b32_e32 v2, 0x7c00, v2, vcc_lo
	v_cmp_ne_u32_e32 vcc_lo, v16, v14
	v_fmac_f16_e32 v18, v48, v3
	v_add_nc_u32_e32 v16, 0xfffffc10, v23
	v_mul_f16_e32 v3, v51, v3
	s_wait_alu 0xfffd
	v_cndmask_b32_e64 v14, 0, 1, vcc_lo
	v_cmp_ne_u32_e32 vcc_lo, 0, v19
	v_cvt_f32_f16_e32 v18, v18
	v_lshl_or_b32 v22, v16, 12, v6
	v_fma_f16 v3, v48, v15, -v3
	v_or_b32_e32 v20, v13, v14
	s_wait_alu 0xfffd
	v_cndmask_b32_e64 v19, 0, 1, vcc_lo
	v_cmp_gt_i32_e32 vcc_lo, 1, v16
	v_cvt_f64_f32_e32 v[13:14], v18
	s_delay_alu instid0(VALU_DEP_3)
	v_lshl_or_b32 v19, v19, 9, 0x7c00
	s_wait_alu 0xfffd
	v_cndmask_b32_e32 v18, v22, v20, vcc_lo
	v_cmp_ne_u32_e32 vcc_lo, 0, v11
	v_lshrrev_b32_e32 v20, 8, v12
	v_bfe_u32 v22, v12, 20, 11
	v_lshrrev_b32_e32 v12, 16, v12
	v_and_b32_e32 v23, 7, v18
	s_wait_alu 0xfffd
	v_cndmask_b32_e64 v11, 0, 1, vcc_lo
	v_cmp_eq_u32_e32 vcc_lo, 0x40f, v21
	v_and_or_b32 v8, 0x1ff, v9, v8
	v_lshrrev_b32_e32 v21, 16, v10
	v_cmp_eq_u32_e64 s0, 3, v23
	v_and_or_b32 v20, 0xffe, v20, v11
	s_wait_alu 0xfffd
	v_cndmask_b32_e32 v19, v2, v19, vcc_lo
	v_sub_nc_u32_e32 v2, 0x3f1, v22
	v_cmp_lt_i32_e32 vcc_lo, 5, v23
	v_lshrrev_b32_e32 v11, 2, v18
	v_or_b32_e32 v18, 0x1000, v20
	v_lshrrev_b32_e32 v10, 8, v9
	v_med3_i32 v2, v2, 0, 13
	s_or_b32 vcc_lo, s0, vcc_lo
	v_bfe_u32 v15, v9, 20, 11
	s_wait_alu 0xfffe
	v_add_co_ci_u32_e32 v23, vcc_lo, 0, v11, vcc_lo
	v_lshrrev_b32_e32 v24, v2, v18
	v_cmp_ne_u32_e32 vcc_lo, 0, v6
	v_add_nc_u32_e32 v22, 0xfffffc10, v22
	v_sub_nc_u32_e32 v25, 0x3f1, v15
	v_cvt_f32_f16_e32 v11, v3
	v_lshlrev_b32_e32 v2, v2, v24
	s_wait_alu 0xfffd
	v_cndmask_b32_e64 v6, 0, 1, vcc_lo
	v_cmp_ne_u32_e32 vcc_lo, 0, v8
	v_add_nc_u32_e32 v15, 0xfffffc10, v15
	s_delay_alu instid0(VALU_DEP_3)
	v_lshl_or_b32 v6, v6, 9, 0x7c00
	s_wait_alu 0xfffd
	v_cndmask_b32_e64 v8, 0, 1, vcc_lo
	v_cmp_ne_u32_e32 vcc_lo, v2, v18
	v_mul_f64_e32 v[2:3], s[8:9], v[13:14]
	v_lshl_or_b32 v14, v22, 12, v20
	s_delay_alu instid0(VALU_DEP_4) | instskip(SKIP_4) | instid1(VALU_DEP_3)
	v_and_or_b32 v8, 0xffe, v10, v8
	s_wait_alu 0xfffd
	v_cndmask_b32_e64 v18, 0, 1, vcc_lo
	v_cmp_gt_i32_e32 vcc_lo, 31, v16
	v_cvt_f64_f32_e32 v[10:11], v11
	v_or_b32_e32 v13, v24, v18
	v_or_b32_e32 v18, 0x1000, v8
	v_med3_i32 v24, v25, 0, 13
	s_wait_alu 0xfffd
	v_cndmask_b32_e32 v23, 0x7c00, v23, vcc_lo
	v_cmp_gt_i32_e32 vcc_lo, 1, v22
	s_wait_alu 0xfffd
	v_cndmask_b32_e32 v13, v14, v13, vcc_lo
	v_lshrrev_b32_e32 v14, v24, v18
	v_cmp_eq_u32_e32 vcc_lo, 0x40f, v16
	s_delay_alu instid0(VALU_DEP_3) | instskip(NEXT) | instid1(VALU_DEP_3)
	v_and_b32_e32 v25, 7, v13
	v_lshlrev_b32_e32 v24, v24, v14
	s_wait_alu 0xfffd
	v_cndmask_b32_e32 v16, v23, v6, vcc_lo
	v_lshrrev_b32_e32 v23, 16, v7
	ds_load_2addr_b32 v[6:7], v1 offset0:56 offset1:134
	v_and_or_b32 v1, 0x8000, v21, v19
	v_cmp_ne_u32_e64 s0, v24, v18
	v_cmp_lt_i32_e32 vcc_lo, 5, v25
	v_and_or_b32 v16, 0x8000, v23, v16
	s_delay_alu instid0(VALU_DEP_4)
	v_and_b32_e32 v18, 0xffff, v1
	s_wait_alu 0xf1ff
	v_cndmask_b32_e64 v17, 0, 1, s0
	v_cmp_eq_u32_e64 s0, 3, v25
	v_lshrrev_b32_e32 v1, 2, v13
	v_lshrrev_b32_e32 v21, 8, v3
	s_delay_alu instid0(VALU_DEP_4) | instskip(NEXT) | instid1(VALU_DEP_4)
	v_or_b32_e32 v13, v14, v17
	s_or_b32 vcc_lo, s0, vcc_lo
	v_lshl_or_b32 v14, v15, 12, v8
	s_wait_alu 0xfffe
	v_add_co_ci_u32_e32 v17, vcc_lo, 0, v1, vcc_lo
	v_cmp_ne_u32_e32 vcc_lo, 0, v20
	v_and_or_b32 v20, 0x1ff, v3, v2
	v_mul_f64_e32 v[1:2], s[8:9], v[10:11]
	v_bfe_u32 v23, v3, 20, 11
	v_lshl_or_b32 v16, v16, 16, v18
	s_wait_alu 0xfffd
	v_cndmask_b32_e64 v19, 0, 1, vcc_lo
	v_cmp_gt_i32_e32 vcc_lo, 1, v15
	v_lshrrev_b32_e32 v3, 16, v3
	s_wait_alu 0xfffd
	v_cndmask_b32_e32 v13, v14, v13, vcc_lo
	s_wait_dscnt 0x0
	v_lshrrev_b32_e32 v14, 16, v6
	v_cmp_gt_i32_e32 vcc_lo, 31, v22
	s_delay_alu instid0(VALU_DEP_2)
	v_mul_f16_e32 v11, v49, v14
	s_wait_alu 0xfffd
	v_cndmask_b32_e32 v10, 0x7c00, v17, vcc_lo
	v_cmp_ne_u32_e32 vcc_lo, 0, v20
	v_lshl_or_b32 v17, v19, 9, 0x7c00
	v_and_b32_e32 v19, 7, v13
	v_fmac_f16_e32 v11, v46, v6
	v_lshrrev_b32_e32 v13, 2, v13
	s_wait_alu 0xfffd
	v_cndmask_b32_e64 v20, 0, 1, vcc_lo
	v_cmp_eq_u32_e32 vcc_lo, 0x40f, v22
	v_cmp_eq_u32_e64 s0, 3, v19
	v_mul_f16_e32 v6, v49, v6
	s_delay_alu instid0(VALU_DEP_4)
	v_and_or_b32 v20, 0xffe, v21, v20
	s_wait_alu 0xfffd
	v_cndmask_b32_e32 v17, v10, v17, vcc_lo
	v_cvt_f32_f16_e32 v10, v11
	v_cmp_lt_i32_e32 vcc_lo, 5, v19
	v_sub_nc_u32_e32 v21, 0x3f1, v23
	v_or_b32_e32 v19, 0x1000, v20
	v_and_or_b32 v12, 0x8000, v12, v17
	v_cvt_f64_f32_e32 v[10:11], v10
	s_or_b32 vcc_lo, s0, vcc_lo
	v_med3_i32 v21, v21, 0, 13
	s_wait_alu 0xfffe
	v_add_co_ci_u32_e32 v13, vcc_lo, 0, v13, vcc_lo
	v_cmp_ne_u32_e32 vcc_lo, 0, v8
	v_fma_f16 v6, v46, v14, -v6
	v_lshrrev_b32_e32 v22, v21, v19
	v_and_or_b32 v1, 0x1ff, v2, v1
	v_and_b32_e32 v12, 0xffff, v12
	s_wait_alu 0xfffd
	v_cndmask_b32_e64 v8, 0, 1, vcc_lo
	v_cmp_gt_i32_e32 vcc_lo, 31, v15
	v_lshlrev_b32_e32 v17, v21, v22
	v_cvt_f32_f16_e32 v6, v6
	v_bfe_u32 v21, v2, 20, 11
	v_lshl_or_b32 v8, v8, 9, 0x7c00
	s_wait_alu 0xfffd
	v_cndmask_b32_e32 v13, 0x7c00, v13, vcc_lo
	v_cmp_eq_u32_e32 vcc_lo, 0x40f, v15
	v_lshrrev_b32_e32 v15, 16, v9
	s_wait_alu 0xfffd
	s_delay_alu instid0(VALU_DEP_3)
	v_cndmask_b32_e32 v13, v13, v8, vcc_lo
	v_cmp_ne_u32_e32 vcc_lo, v17, v19
	v_cvt_f64_f32_e32 v[8:9], v6
	v_add_nc_u32_e32 v17, 0xfffffc10, v23
	v_lshrrev_b32_e32 v19, 8, v2
	v_and_or_b32 v13, 0x8000, v15, v13
	s_wait_alu 0xfffd
	v_cndmask_b32_e64 v14, 0, 1, vcc_lo
	v_cmp_ne_u32_e32 vcc_lo, 0, v1
	s_delay_alu instid0(VALU_DEP_3) | instskip(NEXT) | instid1(VALU_DEP_3)
	v_lshl_or_b32 v23, v13, 16, v12
	v_or_b32_e32 v6, v22, v14
	s_wait_alu 0xfffd
	v_cndmask_b32_e64 v1, 0, 1, vcc_lo
	v_lshl_or_b32 v14, v17, 12, v20
	v_sub_nc_u32_e32 v22, 0x3f1, v21
	v_cmp_gt_i32_e32 vcc_lo, 1, v17
	v_mul_f64_e32 v[10:11], s[8:9], v[10:11]
	v_and_or_b32 v19, 0xffe, v19, v1
	ds_load_2addr_b32 v[0:1], v0 offset0:12 offset1:90
	v_med3_i32 v22, v22, 0, 13
	s_wait_alu 0xfffd
	v_cndmask_b32_e32 v6, v14, v6, vcc_lo
	v_add_co_u32 v4, vcc_lo, v4, s2
	v_or_b32_e32 v14, 0x1000, v19
	s_wait_alu 0xfffd
	v_add_co_ci_u32_e32 v5, vcc_lo, s3, v5, vcc_lo
	v_and_b32_e32 v15, 7, v6
	v_lshrrev_b32_e32 v6, 2, v6
	v_lshrrev_b32_e32 v18, v22, v14
	v_add_nc_u32_e32 v21, 0xfffffc10, v21
	s_delay_alu instid0(VALU_DEP_4) | instskip(SKIP_1) | instid1(VALU_DEP_4)
	v_cmp_lt_i32_e32 vcc_lo, 5, v15
	v_cmp_eq_u32_e64 s0, 3, v15
	v_lshlrev_b32_e32 v12, v22, v18
	s_delay_alu instid0(VALU_DEP_2) | instskip(SKIP_2) | instid1(VALU_DEP_2)
	s_or_b32 vcc_lo, s0, vcc_lo
	s_wait_dscnt 0x0
	v_lshrrev_b32_e32 v22, 16, v0
	v_cmp_ne_u32_e64 s1, v12, v14
	s_wait_alu 0xfffe
	v_add_co_ci_u32_e32 v6, vcc_lo, 0, v6, vcc_lo
	v_cmp_ne_u32_e32 vcc_lo, 0, v20
	v_mul_f16_e32 v13, v47, v22
	s_wait_alu 0xf1ff
	v_cndmask_b32_e64 v12, 0, 1, s1
	v_lshl_or_b32 v14, v21, 12, v19
	v_mul_f64_e32 v[8:9], s[8:9], v[8:9]
	s_wait_alu 0xfffd
	v_cndmask_b32_e64 v15, 0, 1, vcc_lo
	v_fmac_f16_e32 v13, v44, v0
	v_or_b32_e32 v12, v18, v12
	v_cmp_gt_i32_e32 vcc_lo, 1, v21
	v_mul_f16_e32 v0, v47, v0
	v_lshl_or_b32 v20, v15, 9, 0x7c00
	v_and_or_b32 v10, 0x1ff, v11, v10
	s_wait_alu 0xfffd
	v_cndmask_b32_e32 v18, v14, v12, vcc_lo
	v_cvt_f32_f16_e32 v12, v13
	v_cmp_gt_i32_e32 vcc_lo, 31, v17
	v_fma_f16 v0, v44, v22, -v0
	v_cmp_ne_u32_e64 s0, 0, v10
	v_and_b32_e32 v24, 7, v18
	v_cvt_f64_f32_e32 v[12:13], v12
	s_wait_alu 0xfffd
	v_cndmask_b32_e32 v6, 0x7c00, v6, vcc_lo
	v_add_co_u32 v14, vcc_lo, v4, s4
	s_wait_alu 0xfffd
	v_add_co_ci_u32_e32 v15, vcc_lo, s5, v5, vcc_lo
	v_cmp_eq_u32_e32 vcc_lo, 0x40f, v17
	s_wait_alu 0xf1ff
	v_cndmask_b32_e64 v10, 0, 1, s0
	v_cmp_eq_u32_e64 s0, 3, v24
	v_lshrrev_b32_e32 v18, 2, v18
	v_lshrrev_b32_e32 v17, 8, v11
	s_wait_alu 0xfffd
	v_cndmask_b32_e32 v6, v6, v20, vcc_lo
	v_cmp_lt_i32_e32 vcc_lo, 5, v24
	v_bfe_u32 v20, v11, 20, 11
	v_cvt_f32_f16_e32 v0, v0
	v_and_or_b32 v10, 0xffe, v17, v10
	v_and_or_b32 v6, 0x8000, v3, v6
	s_or_b32 vcc_lo, s0, vcc_lo
	v_sub_nc_u32_e32 v17, 0x3f1, v20
	s_wait_alu 0xfffe
	v_add_co_ci_u32_e32 v18, vcc_lo, 0, v18, vcc_lo
	v_cmp_ne_u32_e32 vcc_lo, 0, v19
	v_or_b32_e32 v24, 0x1000, v10
	v_med3_i32 v17, v17, 0, 13
	v_and_or_b32 v3, 0x1ff, v9, v8
	v_bfe_u32 v26, v9, 20, 11
	s_wait_alu 0xfffd
	v_cndmask_b32_e64 v19, 0, 1, vcc_lo
	v_cmp_gt_i32_e32 vcc_lo, 31, v21
	v_lshrrev_b32_e32 v25, v17, v24
	v_and_b32_e32 v6, 0xffff, v6
	global_store_b32 v[4:5], v16, off
	global_store_b32 v[14:15], v23, off
	v_lshl_or_b32 v19, v19, 9, 0x7c00
	s_wait_alu 0xfffd
	v_cndmask_b32_e32 v18, 0x7c00, v18, vcc_lo
	v_cmp_eq_u32_e32 vcc_lo, 0x40f, v21
	v_lshlrev_b32_e32 v17, v17, v25
	v_lshrrev_b32_e32 v21, 8, v9
	v_lshrrev_b32_e32 v11, 16, v11
	v_lshrrev_b32_e32 v9, 16, v9
	s_wait_alu 0xfffd
	v_cndmask_b32_e32 v8, v18, v19, vcc_lo
	v_cmp_ne_u32_e32 vcc_lo, 0, v3
	v_lshrrev_b32_e32 v18, 16, v2
	v_mul_f64_e32 v[2:3], s[8:9], v[12:13]
	s_wait_alu 0xfffd
	v_cndmask_b32_e64 v19, 0, 1, vcc_lo
	v_cmp_ne_u32_e32 vcc_lo, v17, v24
	v_add_nc_u32_e32 v17, 0xfffffc10, v20
	v_sub_nc_u32_e32 v20, 0x3f1, v26
	v_and_or_b32 v8, 0x8000, v18, v8
	v_and_or_b32 v19, 0xffe, v21, v19
	s_wait_alu 0xfffd
	v_cndmask_b32_e64 v12, 0, 1, vcc_lo
	v_lshl_or_b32 v22, v17, 12, v10
	v_cmp_gt_i32_e32 vcc_lo, 1, v17
	v_lshl_or_b32 v16, v8, 16, v6
	v_or_b32_e32 v24, 0x1000, v19
	v_or_b32_e32 v21, v25, v12
	v_cvt_f64_f32_e32 v[12:13], v0
	v_med3_i32 v0, v20, 0, 13
	v_lshrrev_b32_e32 v8, 16, v7
	v_cmp_eq_u32_e64 s1, 0x40f, v17
	s_wait_alu 0xfffd
	v_cndmask_b32_e32 v18, v22, v21, vcc_lo
	v_add_co_u32 v4, vcc_lo, v14, s2
	v_lshrrev_b32_e32 v20, v0, v24
	s_wait_alu 0xfffd
	v_add_co_ci_u32_e32 v5, vcc_lo, s3, v15, vcc_lo
	v_and_b32_e32 v6, 7, v18
	v_add_nc_u32_e32 v21, 0xfffffc10, v26
	v_lshlrev_b32_e32 v0, v0, v20
	v_mul_f16_e32 v14, v45, v8
	s_delay_alu instid0(VALU_DEP_4) | instskip(NEXT) | instid1(VALU_DEP_4)
	v_cmp_lt_i32_e32 vcc_lo, 5, v6
	v_lshl_or_b32 v15, v21, 12, v19
	s_delay_alu instid0(VALU_DEP_4) | instskip(NEXT) | instid1(VALU_DEP_4)
	v_cmp_ne_u32_e64 s0, v0, v24
	v_fmac_f16_e32 v14, v42, v7
	s_wait_alu 0xf1ff
	s_delay_alu instid0(VALU_DEP_2)
	v_cndmask_b32_e64 v0, 0, 1, s0
	v_cmp_eq_u32_e64 s0, 3, v6
	v_lshrrev_b32_e32 v6, 2, v18
	v_and_or_b32 v2, 0x1ff, v3, v2
	v_cvt_f32_f16_e32 v14, v14
	v_or_b32_e32 v0, v20, v0
	s_or_b32 vcc_lo, s0, vcc_lo
	v_lshrrev_b32_e32 v18, 8, v3
	s_wait_alu 0xfffe
	v_add_co_ci_u32_e32 v6, vcc_lo, 0, v6, vcc_lo
	v_cmp_gt_i32_e32 vcc_lo, 1, v21
	v_bfe_u32 v20, v3, 20, 11
	s_wait_alu 0xfffd
	v_cndmask_b32_e32 v0, v15, v0, vcc_lo
	v_cmp_ne_u32_e32 vcc_lo, 0, v2
	v_cvt_f64_f32_e32 v[14:15], v14
	v_mul_f64_e32 v[12:13], s[8:9], v[12:13]
	s_delay_alu instid0(VALU_DEP_4)
	v_and_b32_e32 v22, 7, v0
	s_wait_alu 0xfffd
	v_cndmask_b32_e64 v2, 0, 1, vcc_lo
	v_cmp_ne_u32_e32 vcc_lo, 0, v10
	v_lshrrev_b32_e32 v0, 2, v0
	v_cmp_eq_u32_e64 s0, 3, v22
	s_delay_alu instid0(VALU_DEP_4)
	v_and_or_b32 v2, 0xffe, v18, v2
	s_wait_alu 0xfffd
	v_cndmask_b32_e64 v10, 0, 1, vcc_lo
	v_cmp_gt_i32_e32 vcc_lo, 31, v17
	v_sub_nc_u32_e32 v18, 0x3f1, v20
	v_or_b32_e32 v23, 0x1000, v2
	s_delay_alu instid0(VALU_DEP_4) | instskip(SKIP_4) | instid1(VALU_DEP_3)
	v_lshl_or_b32 v10, v10, 9, 0x7c00
	s_wait_alu 0xfffd
	v_cndmask_b32_e32 v6, 0x7c00, v6, vcc_lo
	v_cmp_lt_i32_e32 vcc_lo, 5, v22
	v_med3_i32 v18, v18, 0, 13
	v_cndmask_b32_e64 v6, v6, v10, s1
	s_or_b32 vcc_lo, s0, vcc_lo
	s_delay_alu instid0(VALU_DEP_2)
	v_lshrrev_b32_e32 v10, v18, v23
	s_wait_alu 0xfffe
	v_add_co_ci_u32_e32 v0, vcc_lo, 0, v0, vcc_lo
	v_cmp_ne_u32_e32 vcc_lo, 0, v19
	v_add_nc_u32_e32 v19, 0xfffffc10, v20
	v_lshlrev_b32_e32 v18, v18, v10
	v_and_or_b32 v11, 0x8000, v11, v6
	s_wait_alu 0xfffd
	v_cndmask_b32_e64 v17, 0, 1, vcc_lo
	v_cmp_gt_i32_e32 vcc_lo, 31, v21
	s_delay_alu instid0(VALU_DEP_3) | instskip(NEXT) | instid1(VALU_DEP_3)
	v_and_b32_e32 v11, 0xffff, v11
	v_lshl_or_b32 v17, v17, 9, 0x7c00
	s_wait_alu 0xfffd
	v_cndmask_b32_e32 v0, 0x7c00, v0, vcc_lo
	v_cmp_ne_u32_e32 vcc_lo, v18, v23
	v_and_or_b32 v12, 0x1ff, v13, v12
	s_wait_alu 0xfffd
	v_cndmask_b32_e64 v18, 0, 1, vcc_lo
	v_cmp_eq_u32_e32 vcc_lo, 0x40f, v21
	s_delay_alu instid0(VALU_DEP_2)
	v_or_b32_e32 v10, v10, v18
	s_wait_alu 0xfffd
	v_cndmask_b32_e32 v0, v0, v17, vcc_lo
	v_mul_f16_e32 v17, v45, v7
	v_mul_f64_e32 v[6:7], s[8:9], v[14:15]
	v_lshl_or_b32 v14, v19, 12, v2
	v_cmp_gt_i32_e32 vcc_lo, 1, v19
	v_bfe_u32 v15, v13, 20, 11
	v_fma_f16 v8, v42, v8, -v17
	v_and_or_b32 v0, 0x8000, v9, v0
	v_lshrrev_b32_e32 v18, 16, v1
	s_wait_alu 0xfffd
	v_cndmask_b32_e32 v10, v14, v10, vcc_lo
	v_cmp_ne_u32_e32 vcc_lo, 0, v12
	v_cvt_f32_f16_e32 v8, v8
	v_lshrrev_b32_e32 v14, 8, v13
	v_mul_f16_e32 v21, v43, v18
	v_and_b32_e32 v17, 7, v10
	s_wait_alu 0xfffd
	v_cndmask_b32_e64 v12, 0, 1, vcc_lo
	v_cvt_f64_f32_e32 v[8:9], v8
	v_fmac_f16_e32 v21, v41, v1
	v_cmp_lt_i32_e32 vcc_lo, 5, v17
	s_delay_alu instid0(VALU_DEP_4)
	v_and_or_b32 v12, 0xffe, v14, v12
	v_sub_nc_u32_e32 v14, 0x3f1, v15
	v_cmp_eq_u32_e64 s0, 3, v17
	v_lshl_or_b32 v17, v0, 16, v11
	v_lshrrev_b32_e32 v0, 2, v10
	v_or_b32_e32 v20, 0x1000, v12
	v_med3_i32 v14, v14, 0, 13
	s_or_b32 vcc_lo, s0, vcc_lo
	v_cvt_f32_f16_e32 v10, v21
	s_wait_alu 0xfffe
	v_add_co_ci_u32_e32 v0, vcc_lo, 0, v0, vcc_lo
	v_lshrrev_b32_e32 v22, v14, v20
	v_cmp_ne_u32_e32 vcc_lo, 0, v2
	v_cvt_f64_f32_e32 v[10:11], v10
	v_mul_f16_e32 v1, v43, v1
	s_delay_alu instid0(VALU_DEP_4) | instskip(SKIP_4) | instid1(VALU_DEP_3)
	v_lshlrev_b32_e32 v14, v14, v22
	s_wait_alu 0xfffd
	v_cndmask_b32_e64 v2, 0, 1, vcc_lo
	v_cmp_gt_i32_e32 vcc_lo, 31, v19
	v_fma_f16 v18, v41, v18, -v1
	v_lshl_or_b32 v2, v2, 9, 0x7c00
	s_wait_alu 0xfffd
	v_cndmask_b32_e32 v21, 0x7c00, v0, vcc_lo
	v_and_or_b32 v0, 0x1ff, v7, v6
	v_cmp_ne_u32_e32 vcc_lo, v14, v20
	v_add_nc_u32_e32 v14, 0xfffffc10, v15
	v_lshrrev_b32_e32 v15, 8, v7
	v_bfe_u32 v20, v7, 20, 11
	v_lshrrev_b32_e32 v7, 16, v7
	s_wait_alu 0xfffd
	v_cndmask_b32_e64 v6, 0, 1, vcc_lo
	v_cmp_ne_u32_e32 vcc_lo, 0, v0
	s_delay_alu instid0(VALU_DEP_2) | instskip(SKIP_4) | instid1(VALU_DEP_3)
	v_or_b32_e32 v6, v22, v6
	s_wait_alu 0xfffd
	v_cndmask_b32_e64 v0, 0, 1, vcc_lo
	v_lshl_or_b32 v22, v14, 12, v12
	v_cmp_gt_i32_e32 vcc_lo, 1, v14
	v_and_or_b32 v15, 0xffe, v15, v0
	v_mul_f64_e32 v[0:1], s[8:9], v[8:9]
	v_sub_nc_u32_e32 v8, 0x3f1, v20
	s_wait_alu 0xfffd
	v_cndmask_b32_e32 v6, v22, v6, vcc_lo
	v_cvt_f32_f16_e32 v9, v18
	v_cmp_eq_u32_e32 vcc_lo, 0x40f, v19
	v_or_b32_e32 v18, 0x1000, v15
	v_med3_i32 v22, v8, 0, 13
	v_and_b32_e32 v23, 7, v6
	v_cvt_f64_f32_e32 v[8:9], v9
	s_wait_alu 0xfffd
	v_cndmask_b32_e32 v19, v21, v2, vcc_lo
	v_add_co_u32 v2, vcc_lo, v4, s4
	v_lshrrev_b32_e32 v24, v22, v18
	v_lshrrev_b32_e32 v21, 16, v3
	s_wait_alu 0xfffd
	v_add_co_ci_u32_e32 v3, vcc_lo, s5, v5, vcc_lo
	v_cmp_lt_i32_e32 vcc_lo, 5, v23
	v_cmp_eq_u32_e64 s0, 3, v23
	v_lshrrev_b32_e32 v6, 2, v6
	v_lshlrev_b32_e32 v22, v22, v24
	v_mul_f64_e32 v[10:11], s[8:9], v[10:11]
	v_add_nc_u32_e32 v20, 0xfffffc10, v20
	s_or_b32 vcc_lo, s0, vcc_lo
	v_and_or_b32 v19, 0x8000, v21, v19
	s_wait_alu 0xfffe
	v_add_co_ci_u32_e32 v6, vcc_lo, 0, v6, vcc_lo
	v_cmp_ne_u32_e64 s1, v22, v18
	v_cmp_ne_u32_e32 vcc_lo, 0, v12
	v_lshl_or_b32 v21, v20, 12, v15
	s_wait_alu 0xf1ff
	s_delay_alu instid0(VALU_DEP_3) | instskip(SKIP_3) | instid1(VALU_DEP_3)
	v_cndmask_b32_e64 v18, 0, 1, s1
	s_wait_alu 0xfffd
	v_cndmask_b32_e64 v12, 0, 1, vcc_lo
	v_cmp_gt_i32_e32 vcc_lo, 31, v14
	v_or_b32_e32 v18, v24, v18
	s_delay_alu instid0(VALU_DEP_3)
	v_lshl_or_b32 v12, v12, 9, 0x7c00
	s_wait_alu 0xfffd
	v_cndmask_b32_e32 v6, 0x7c00, v6, vcc_lo
	v_cmp_gt_i32_e32 vcc_lo, 1, v20
	v_and_or_b32 v0, 0x1ff, v1, v0
	s_wait_alu 0xfffd
	v_cndmask_b32_e32 v18, v21, v18, vcc_lo
	v_cmp_eq_u32_e32 vcc_lo, 0x40f, v14
	v_lshrrev_b32_e32 v14, 8, v1
	v_mul_f64_e32 v[8:9], s[8:9], v[8:9]
	v_bfe_u32 v21, v1, 20, 11
	v_lshrrev_b32_e32 v1, 16, v1
	s_wait_alu 0xfffd
	v_cndmask_b32_e32 v6, v6, v12, vcc_lo
	v_lshrrev_b32_e32 v12, 16, v13
	v_cmp_ne_u32_e32 vcc_lo, 0, v0
	v_and_b32_e32 v13, 7, v18
	s_delay_alu instid0(VALU_DEP_3)
	v_and_or_b32 v6, 0x8000, v12, v6
	v_and_b32_e32 v12, 0xffff, v19
	s_wait_alu 0xfffd
	v_cndmask_b32_e64 v0, 0, 1, vcc_lo
	v_cmp_lt_i32_e32 vcc_lo, 5, v13
	v_cmp_eq_u32_e64 s0, 3, v13
	v_and_or_b32 v10, 0x1ff, v11, v10
	v_lshl_or_b32 v12, v6, 16, v12
	v_lshrrev_b32_e32 v6, 2, v18
	v_and_or_b32 v0, 0xffe, v14, v0
	v_sub_nc_u32_e32 v14, 0x3f1, v21
	s_or_b32 vcc_lo, s0, vcc_lo
	v_lshrrev_b32_e32 v19, 8, v11
	s_wait_alu 0xfffe
	v_add_co_ci_u32_e32 v6, vcc_lo, 0, v6, vcc_lo
	v_or_b32_e32 v13, 0x1000, v0
	v_med3_i32 v14, v14, 0, 13
	v_cmp_ne_u32_e32 vcc_lo, 0, v15
	v_bfe_u32 v22, v11, 20, 11
	v_lshrrev_b32_e32 v11, 16, v11
	s_delay_alu instid0(VALU_DEP_4) | instskip(SKIP_3) | instid1(VALU_DEP_3)
	v_lshrrev_b32_e32 v18, v14, v13
	s_wait_alu 0xfffd
	v_cndmask_b32_e64 v15, 0, 1, vcc_lo
	v_cmp_gt_i32_e32 vcc_lo, 31, v20
	v_lshlrev_b32_e32 v14, v14, v18
	s_delay_alu instid0(VALU_DEP_3)
	v_lshl_or_b32 v15, v15, 9, 0x7c00
	s_wait_alu 0xfffd
	v_cndmask_b32_e32 v6, 0x7c00, v6, vcc_lo
	v_cmp_ne_u32_e32 vcc_lo, 0, v10
	v_and_or_b32 v8, 0x1ff, v9, v8
	s_wait_alu 0xfffd
	v_cndmask_b32_e64 v10, 0, 1, vcc_lo
	v_cmp_ne_u32_e32 vcc_lo, v14, v13
	v_add_nc_u32_e32 v14, 0xfffffc10, v21
	v_bfe_u32 v21, v9, 20, 11
	s_delay_alu instid0(VALU_DEP_4)
	v_and_or_b32 v10, 0xffe, v19, v10
	s_wait_alu 0xfffd
	v_cndmask_b32_e64 v13, 0, 1, vcc_lo
	v_sub_nc_u32_e32 v19, 0x3f1, v22
	v_cmp_eq_u32_e32 vcc_lo, 0x40f, v20
	v_lshrrev_b32_e32 v20, 8, v9
	s_delay_alu instid0(VALU_DEP_4)
	v_or_b32_e32 v13, v18, v13
	v_or_b32_e32 v18, 0x1000, v10
	s_wait_alu 0xfffd
	v_cndmask_b32_e32 v6, v6, v15, vcc_lo
	v_lshl_or_b32 v15, v14, 12, v0
	v_med3_i32 v19, v19, 0, 13
	v_cmp_gt_i32_e32 vcc_lo, 1, v14
	s_delay_alu instid0(VALU_DEP_4)
	v_and_or_b32 v6, 0x8000, v7, v6
	s_wait_alu 0xfffd
	v_cndmask_b32_e32 v13, v15, v13, vcc_lo
	v_lshrrev_b32_e32 v15, v19, v18
	v_cmp_ne_u32_e32 vcc_lo, 0, v8
	v_and_b32_e32 v6, 0xffff, v6
	s_delay_alu instid0(VALU_DEP_4) | instskip(NEXT) | instid1(VALU_DEP_4)
	v_and_b32_e32 v23, 7, v13
	v_lshlrev_b32_e32 v19, v19, v15
	s_wait_alu 0xfffd
	v_cndmask_b32_e64 v8, 0, 1, vcc_lo
	v_lshrrev_b32_e32 v13, 2, v13
	v_cmp_lt_i32_e32 vcc_lo, 5, v23
	v_cmp_ne_u32_e64 s0, v19, v18
	s_delay_alu instid0(VALU_DEP_4)
	v_and_or_b32 v7, 0xffe, v20, v8
	v_sub_nc_u32_e32 v8, 0x3f1, v21
	v_add_nc_u32_e32 v20, 0xfffffc10, v22
	s_wait_alu 0xf1ff
	v_cndmask_b32_e64 v18, 0, 1, s0
	v_cmp_eq_u32_e64 s0, 3, v23
	v_or_b32_e32 v19, 0x1000, v7
	v_med3_i32 v8, v8, 0, 13
	v_lshl_or_b32 v22, v20, 12, v10
	v_or_b32_e32 v15, v15, v18
	s_or_b32 vcc_lo, s0, vcc_lo
	s_wait_alu 0xfffe
	v_add_co_ci_u32_e32 v13, vcc_lo, 0, v13, vcc_lo
	v_lshrrev_b32_e32 v18, v8, v19
	v_cmp_gt_i32_e32 vcc_lo, 1, v20
	s_wait_alu 0xfffd
	s_delay_alu instid0(VALU_DEP_2) | instskip(SKIP_3) | instid1(VALU_DEP_3)
	v_dual_cndmask_b32 v15, v22, v15 :: v_dual_lshlrev_b32 v8, v8, v18
	v_cmp_ne_u32_e32 vcc_lo, 0, v0
	s_wait_alu 0xfffd
	v_cndmask_b32_e64 v0, 0, 1, vcc_lo
	v_cmp_ne_u32_e32 vcc_lo, v8, v19
	v_add_nc_u32_e32 v19, 0xfffffc10, v21
	v_and_b32_e32 v21, 7, v15
	s_delay_alu instid0(VALU_DEP_4)
	v_lshl_or_b32 v0, v0, 9, 0x7c00
	s_wait_alu 0xfffd
	v_cndmask_b32_e64 v8, 0, 1, vcc_lo
	v_cmp_gt_i32_e32 vcc_lo, 31, v14
	v_cmp_gt_i32_e64 s1, 1, v19
	v_cmp_eq_u32_e64 s0, 3, v21
	s_delay_alu instid0(VALU_DEP_4)
	v_or_b32_e32 v8, v18, v8
	v_lshl_or_b32 v18, v19, 12, v7
	s_wait_alu 0xfffd
	v_cndmask_b32_e32 v13, 0x7c00, v13, vcc_lo
	v_cmp_lt_i32_e32 vcc_lo, 5, v21
	s_wait_alu 0xf1ff
	v_cndmask_b32_e64 v8, v18, v8, s1
	v_cmp_eq_u32_e64 s1, 0x40f, v14
	s_or_b32 vcc_lo, s0, vcc_lo
	s_delay_alu instid0(VALU_DEP_2) | instskip(NEXT) | instid1(VALU_DEP_2)
	v_and_b32_e32 v14, 7, v8
	v_cndmask_b32_e64 v0, v13, v0, s1
	v_lshrrev_b32_e32 v13, 2, v15
	v_lshrrev_b32_e32 v8, 2, v8
	v_cmp_gt_i32_e64 s1, 31, v20
	v_cmp_eq_u32_e64 s0, 3, v14
	s_wait_alu 0xfffe
	v_add_co_ci_u32_e32 v13, vcc_lo, 0, v13, vcc_lo
	v_cmp_ne_u32_e32 vcc_lo, 0, v10
	s_wait_alu 0xf1ff
	s_delay_alu instid0(VALU_DEP_2) | instskip(SKIP_3) | instid1(VALU_DEP_2)
	v_cndmask_b32_e64 v13, 0x7c00, v13, s1
	s_wait_alu 0xfffd
	v_cndmask_b32_e64 v10, 0, 1, vcc_lo
	v_cmp_lt_i32_e32 vcc_lo, 5, v14
	v_lshl_or_b32 v10, v10, 9, 0x7c00
	s_or_b32 vcc_lo, s0, vcc_lo
	s_wait_alu 0xfffe
	v_add_co_ci_u32_e32 v8, vcc_lo, 0, v8, vcc_lo
	v_cmp_ne_u32_e32 vcc_lo, 0, v7
	s_wait_alu 0xfffd
	v_cndmask_b32_e64 v7, 0, 1, vcc_lo
	v_cmp_eq_u32_e32 vcc_lo, 0x40f, v20
	s_delay_alu instid0(VALU_DEP_2) | instskip(SKIP_4) | instid1(VALU_DEP_3)
	v_lshl_or_b32 v7, v7, 9, 0x7c00
	s_wait_alu 0xfffd
	v_cndmask_b32_e32 v10, v13, v10, vcc_lo
	v_cmp_gt_i32_e32 vcc_lo, 31, v19
	v_and_or_b32 v13, 0x8000, v1, v0
	v_and_or_b32 v10, 0x8000, v11, v10
	s_wait_alu 0xfffd
	v_cndmask_b32_e32 v8, 0x7c00, v8, vcc_lo
	v_cmp_eq_u32_e32 vcc_lo, 0x40f, v19
	v_lshl_or_b32 v11, v13, 16, v6
	s_wait_alu 0xfffd
	s_delay_alu instid0(VALU_DEP_3) | instskip(SKIP_4) | instid1(VALU_DEP_3)
	v_cndmask_b32_e32 v7, v8, v7, vcc_lo
	v_lshrrev_b32_e32 v8, 16, v9
	v_add_co_u32 v0, vcc_lo, v2, s2
	s_wait_alu 0xfffd
	v_add_co_ci_u32_e32 v1, vcc_lo, s3, v3, vcc_lo
	v_and_or_b32 v8, 0x8000, v8, v7
	v_and_b32_e32 v9, 0xffff, v10
	v_add_co_u32 v6, vcc_lo, v0, s4
	s_wait_alu 0xfffd
	v_add_co_ci_u32_e32 v7, vcc_lo, s5, v1, vcc_lo
	s_delay_alu instid0(VALU_DEP_3) | instskip(NEXT) | instid1(VALU_DEP_3)
	v_lshl_or_b32 v10, v8, 16, v9
	v_add_co_u32 v8, vcc_lo, v6, s2
	s_wait_alu 0xfffd
	s_delay_alu instid0(VALU_DEP_3)
	v_add_co_ci_u32_e32 v9, vcc_lo, s3, v7, vcc_lo
	global_store_b32 v[4:5], v16, off
	global_store_b32 v[2:3], v17, off
	;; [unrolled: 1-line block ×5, first 2 shown]
.LBB0_10:
	s_nop 0
	s_sendmsg sendmsg(MSG_DEALLOC_VGPRS)
	s_endpgm
	.section	.rodata,"a",@progbits
	.p2align	6, 0x0
	.amdhsa_kernel bluestein_single_back_len936_dim1_half_op_CI_CI
		.amdhsa_group_segment_fixed_size 11232
		.amdhsa_private_segment_fixed_size 0
		.amdhsa_kernarg_size 104
		.amdhsa_user_sgpr_count 2
		.amdhsa_user_sgpr_dispatch_ptr 0
		.amdhsa_user_sgpr_queue_ptr 0
		.amdhsa_user_sgpr_kernarg_segment_ptr 1
		.amdhsa_user_sgpr_dispatch_id 0
		.amdhsa_user_sgpr_private_segment_size 0
		.amdhsa_wavefront_size32 1
		.amdhsa_uses_dynamic_stack 0
		.amdhsa_enable_private_segment 0
		.amdhsa_system_sgpr_workgroup_id_x 1
		.amdhsa_system_sgpr_workgroup_id_y 0
		.amdhsa_system_sgpr_workgroup_id_z 0
		.amdhsa_system_sgpr_workgroup_info 0
		.amdhsa_system_vgpr_workitem_id 0
		.amdhsa_next_free_vgpr 214
		.amdhsa_next_free_sgpr 20
		.amdhsa_reserve_vcc 1
		.amdhsa_float_round_mode_32 0
		.amdhsa_float_round_mode_16_64 0
		.amdhsa_float_denorm_mode_32 3
		.amdhsa_float_denorm_mode_16_64 3
		.amdhsa_fp16_overflow 0
		.amdhsa_workgroup_processor_mode 1
		.amdhsa_memory_ordered 1
		.amdhsa_forward_progress 0
		.amdhsa_round_robin_scheduling 0
		.amdhsa_exception_fp_ieee_invalid_op 0
		.amdhsa_exception_fp_denorm_src 0
		.amdhsa_exception_fp_ieee_div_zero 0
		.amdhsa_exception_fp_ieee_overflow 0
		.amdhsa_exception_fp_ieee_underflow 0
		.amdhsa_exception_fp_ieee_inexact 0
		.amdhsa_exception_int_div_zero 0
	.end_amdhsa_kernel
	.text
.Lfunc_end0:
	.size	bluestein_single_back_len936_dim1_half_op_CI_CI, .Lfunc_end0-bluestein_single_back_len936_dim1_half_op_CI_CI
                                        ; -- End function
	.section	.AMDGPU.csdata,"",@progbits
; Kernel info:
; codeLenInByte = 27472
; NumSgprs: 22
; NumVgprs: 214
; ScratchSize: 0
; MemoryBound: 0
; FloatMode: 240
; IeeeMode: 1
; LDSByteSize: 11232 bytes/workgroup (compile time only)
; SGPRBlocks: 2
; VGPRBlocks: 26
; NumSGPRsForWavesPerEU: 22
; NumVGPRsForWavesPerEU: 214
; Occupancy: 7
; WaveLimiterHint : 1
; COMPUTE_PGM_RSRC2:SCRATCH_EN: 0
; COMPUTE_PGM_RSRC2:USER_SGPR: 2
; COMPUTE_PGM_RSRC2:TRAP_HANDLER: 0
; COMPUTE_PGM_RSRC2:TGID_X_EN: 1
; COMPUTE_PGM_RSRC2:TGID_Y_EN: 0
; COMPUTE_PGM_RSRC2:TGID_Z_EN: 0
; COMPUTE_PGM_RSRC2:TIDIG_COMP_CNT: 0
	.text
	.p2alignl 7, 3214868480
	.fill 96, 4, 3214868480
	.type	__hip_cuid_3f623f0786fc7908,@object ; @__hip_cuid_3f623f0786fc7908
	.section	.bss,"aw",@nobits
	.globl	__hip_cuid_3f623f0786fc7908
__hip_cuid_3f623f0786fc7908:
	.byte	0                               ; 0x0
	.size	__hip_cuid_3f623f0786fc7908, 1

	.ident	"AMD clang version 19.0.0git (https://github.com/RadeonOpenCompute/llvm-project roc-6.4.0 25133 c7fe45cf4b819c5991fe208aaa96edf142730f1d)"
	.section	".note.GNU-stack","",@progbits
	.addrsig
	.addrsig_sym __hip_cuid_3f623f0786fc7908
	.amdgpu_metadata
---
amdhsa.kernels:
  - .args:
      - .actual_access:  read_only
        .address_space:  global
        .offset:         0
        .size:           8
        .value_kind:     global_buffer
      - .actual_access:  read_only
        .address_space:  global
        .offset:         8
        .size:           8
        .value_kind:     global_buffer
      - .actual_access:  read_only
        .address_space:  global
        .offset:         16
        .size:           8
        .value_kind:     global_buffer
      - .actual_access:  read_only
        .address_space:  global
        .offset:         24
        .size:           8
        .value_kind:     global_buffer
      - .actual_access:  read_only
        .address_space:  global
        .offset:         32
        .size:           8
        .value_kind:     global_buffer
      - .offset:         40
        .size:           8
        .value_kind:     by_value
      - .address_space:  global
        .offset:         48
        .size:           8
        .value_kind:     global_buffer
      - .address_space:  global
        .offset:         56
        .size:           8
        .value_kind:     global_buffer
      - .address_space:  global
        .offset:         64
        .size:           8
        .value_kind:     global_buffer
      - .address_space:  global
        .offset:         72
        .size:           8
        .value_kind:     global_buffer
      - .offset:         80
        .size:           4
        .value_kind:     by_value
      - .address_space:  global
        .offset:         88
        .size:           8
        .value_kind:     global_buffer
      - .address_space:  global
        .offset:         96
        .size:           8
        .value_kind:     global_buffer
    .group_segment_fixed_size: 11232
    .kernarg_segment_align: 8
    .kernarg_segment_size: 104
    .language:       OpenCL C
    .language_version:
      - 2
      - 0
    .max_flat_workgroup_size: 234
    .name:           bluestein_single_back_len936_dim1_half_op_CI_CI
    .private_segment_fixed_size: 0
    .sgpr_count:     22
    .sgpr_spill_count: 0
    .symbol:         bluestein_single_back_len936_dim1_half_op_CI_CI.kd
    .uniform_work_group_size: 1
    .uses_dynamic_stack: false
    .vgpr_count:     214
    .vgpr_spill_count: 0
    .wavefront_size: 32
    .workgroup_processor_mode: 1
amdhsa.target:   amdgcn-amd-amdhsa--gfx1201
amdhsa.version:
  - 1
  - 2
...

	.end_amdgpu_metadata
